;; amdgpu-corpus repo=ROCm/aiter kind=harvested arch=n/a opt=n/a

/root/src/amdgpu-assembly/repos/ROCm__aiter/hsa/gfx950/fmha_v3_fwd/fwd_hd128_bf16_causal_group.co:	file format elf64-amdgpu

Disassembly of section .text:

0000000000003300 <_ZN5aiter32fmha_fwd_hd128_bf16_causal_groupE>:
	s_and_b32 s1, s1, 0xffff                                   // 000000003300: 8601FF01 0000FFFF
	s_load_dwordx2 s[20:21], s[0:1], 0x0                       // 000000003308: C0060500 00000000
	s_load_dwordx2 s[8:9], s[0:1], 0x10                        // 000000003310: C0060200 00000010
	s_load_dwordx2 s[12:13], s[0:1], 0x20                      // 000000003318: C0060300 00000020
	s_load_dwordx2 s[16:17], s[0:1], 0x30                      // 000000003320: C0060400 00000030
	s_load_dwordx2 s[24:25], s[0:1], 0x40                      // 000000003328: C0060600 00000040
	s_load_dword s28, s[0:1], 0x50                             // 000000003330: C0020700 00000050
	s_load_dword s30, s[0:1], 0x60                             // 000000003338: C0020780 00000060
	s_load_dword s50, s[0:1], 0x70                             // 000000003340: C0020C80 00000070
	s_load_dword s31, s[0:1], 0x80                             // 000000003348: C00207C0 00000080
	s_load_dword s32, s[0:1], 0x90                             // 000000003350: C0020800 00000090
	s_load_dword s33, s[0:1], 0xa0                             // 000000003358: C0020840 000000A0
	s_load_dword s46, s[0:1], 0xb0                             // 000000003360: C0020B80 000000B0
	s_load_dword s47, s[0:1], 0xc0                             // 000000003368: C0020BC0 000000C0
	s_load_dword s48, s[0:1], 0xd0                             // 000000003370: C0020C00 000000D0
	s_load_dword s49, s[0:1], 0xe0                             // 000000003378: C0020C40 000000E0
	s_load_dword s55, s[0:1], 0xf0                             // 000000003380: C0020DC0 000000F0
	s_load_dword s56, s[0:1], 0x100                            // 000000003388: C0020E00 00000100
	s_load_dword s7, s[0:1], 0x110                             // 000000003390: C00201C0 00000110
	s_load_dword s90, s[0:1], 0x140                            // 000000003398: C0021680 00000140
	s_load_dword s76, s[0:1], 0x150                            // 0000000033A0: C0021300 00000150
	s_load_dword s77, s[0:1], 0x160                            // 0000000033A8: C0021340 00000160
	s_load_dword s78, s[0:1], 0x170                            // 0000000033B0: C0021380 00000170
	s_load_dword s79, s[0:1], 0x180                            // 0000000033B8: C00213C0 00000180
	s_load_dword s80, s[0:1], 0x190                            // 0000000033C0: C0021400 00000190
	s_load_dword s81, s[0:1], 0x1a0                            // 0000000033C8: C0021440 000001A0
	s_load_dwordx2 s[72:73], s[0:1], 0x1b0                     // 0000000033D0: C0061200 000001B0
	s_load_dwordx2 s[74:75], s[0:1], 0x1c0                     // 0000000033D8: C0061280 000001C0
	s_load_dword s82, s[0:1], 0x1d0                            // 0000000033E0: C0021480 000001D0
	s_load_dwordx2 s[84:85], s[0:1], 0x1e0                     // 0000000033E8: C0061500 000001E0
	s_load_dwordx2 s[86:87], s[0:1], 0x1f0                     // 0000000033F0: C0061580 000001F0
	v_lshrrev_b32_e32 v1, 10, v0                               // 0000000033F8: 2002008A
	v_lshrrev_b32_e32 v2, 10, v1                               // 0000000033FC: 2004028A
	v_and_b32_e32 v2, 0x3ff, v2                                // 000000003400: 260404FF 000003FF
	v_and_b32_e32 v1, 0x3ff, v1                                // 000000003408: 260202FF 000003FF
	v_and_b32_e32 v0, 0x3ff, v0                                // 000000003410: 260000FF 000003FF
	v_lshrrev_b32_e32 v3, 6, v0                                // 000000003418: 20060086
	v_and_b32_e32 v0, 63, v0                                   // 00000000341C: 260000BF
	s_mov_b32 s2, s2                                           // 000000003420: BE820002
	s_mov_b32 s3, s3                                           // 000000003424: BE830003
	s_mov_b32 s4, s4                                           // 000000003428: BE840004
	v_readfirstlane_b32 s5, v3                                 // 00000000342C: 7E0A0503
	s_waitcnt lgkmcnt(0)                                       // 000000003430: BF8CC07F
	s_and_b32 s55, s55, 1                                      // 000000003434: 86378137
	s_nop 1                                                    // 000000003438: BF800001
	s_and_b32 s73, s73, 0xffff                                 // 00000000343C: 8649FF49 0000FFFF
	s_and_b32 s75, s75, 0xffff                                 // 000000003444: 864BFF4B 0000FFFF
	s_and_b32 s85, s85, 0xffff                                 // 00000000344C: 8655FF55 0000FFFF
	s_and_b32 s87, s87, 0xffff                                 // 000000003454: 8657FF57 0000FFFF
	s_mul_i32 s40, s3, 4                                       // 00000000345C: 92288403
	s_load_dword s88, s[84:85], s40                            // 000000003460: C000162A 00000028
	s_load_dword s89, s[86:87], s40                            // 000000003468: C000166B 00000028
	s_load_dword s41, s[72:73], s40                            // 000000003470: C0000A64 00000028
	s_load_dword s42, s[74:75], s40                            // 000000003478: C0000AA5 00000028
	s_add_u32 s40, s40, 4                                      // 000000003480: 80288428
	s_load_dword s57, s[72:73], s40                            // 000000003484: C0000E64 00000028
	s_load_dword s58, s[74:75], s40                            // 00000000348C: C0000EA5 00000028
	s_waitcnt lgkmcnt(0)                                       // 000000003494: BF8CC07F
	s_sub_u32 s30, s57, s41                                    // 000000003498: 809E2939
	s_sub_u32 s7, s58, s42                                     // 00000000349C: 80872A3A
	s_lshr_b32 s40, s55, 1                                     // 0000000034A0: 8F288137
	s_and_b32 s40, 3, s40                                      // 0000000034A4: 86282883
	s_cmp_lt_u32 s40, 1                                        // 0000000034A8: BF0A8128
	s_cbranch_scc1 label_0088                                  // 0000000034AC: BF85001C
	s_add_u32 s41, s30, 0xff                                   // 0000000034B0: 8029FF1E 000000FF
	s_lshr_b32 s41, s41, 8                                     // 0000000034B8: 8F298829
	s_add_u32 s41, s41, 1                                      // 0000000034BC: 80298129
	s_lshr_b32 s6, s41, 1                                      // 0000000034C0: 8F068129
	s_cmp_eq_u32 s40, 2                                        // 0000000034C4: BF068228
	s_cbranch_scc1 label_007B                                  // 0000000034C8: BF850008
	s_lshr_b32 s41, s6, 3                                      // 0000000034CC: 8F298306
	s_lshr_b32 s42, s4, 3                                      // 0000000034D0: 8F2A8304
	s_and_b32 s40, s4, 7                                       // 0000000034D4: 86288704
	s_mul_i32 s40, s40, s41                                    // 0000000034D8: 92282928
	s_add_u32 s40, s42, s40                                    // 0000000034DC: 8028282A
	s_cmp_lt_i32 s42, s41                                      // 0000000034E0: BF04292A
	s_cselect_b32 s4, s40, s4                                  // 0000000034E4: 85040428
	s_branch label_0088                                        // 0000000034E8: BF82000D

00000000000034ec <label_007B>:
	s_and_b32 s40, s2, 7                                       // 0000000034EC: 86288702
	s_mul_i32 s40, s40, s6                                     // 0000000034F0: 92280628
	s_add_u32 s40, s40, s4                                     // 0000000034F4: 80280428
	s_and_b32 s41, s40, 7                                      // 0000000034F8: 86298728
	s_lshr_b32 s4, s40, 3                                      // 0000000034FC: 8F048328
	s_and_b32 s2, s2, -8                                       // 000000003500: 8602C802
	s_add_u32 s2, s2, s41                                      // 000000003504: 80022902
	s_nop 0                                                    // 000000003508: BF800000
	s_nop 0                                                    // 00000000350C: BF800000
	s_nop 0                                                    // 000000003510: BF800000
	s_nop 0                                                    // 000000003514: BF800000
	;; [unrolled: 1-line block ×3, first 2 shown]
	s_nop 0                                                    // 00000000351C: BF800000

0000000000003520 <label_0088>:
	s_add_i32 s40, s30, 0xff                                   // 000000003520: 8128FF1E 000000FF
	s_lshr_b32 s40, s40, 8                                     // 000000003528: 8F288828
	s_addk_i32 s40, 0x1                                        // 00000000352C: B7280001
	s_lshr_b32 s40, s40, 1                                     // 000000003530: 8F288128
	s_cmp_lt_i32 s4, s40                                       // 000000003534: BF042804
	s_cbranch_scc0 label_132E                                  // 000000003538: BF84129F
	s_mul_i32 s40, s30, s50                                    // 00000000353C: 9228321E
	s_mov_b32 s10, s40                                         // 000000003540: BE8A0028
	s_mul_i32 s40, s30, s79                                    // 000000003544: 92284F1E
	s_mov_b32 s22, s40                                         // 000000003548: BE960028
	s_mul_i32 s40, s7, s47                                     // 00000000354C: 92282F07
	s_mov_b32 s14, s40                                         // 000000003550: BE8E0028
	s_mul_i32 s40, s7, s76                                     // 000000003554: 92284C07
	s_mov_b32 s18, s40                                         // 000000003558: BE920028
	s_mul_i32 s40, s30, 4                                      // 00000000355C: 9228841E
	s_mov_b32 s26, s40                                         // 000000003560: BE9A0028
	s_mov_b32 s23, 0x20000                                     // 000000003564: BE9700FF 00020000
	s_mov_b32 s11, 0x20000                                     // 00000000356C: BE8B00FF 00020000
	s_mov_b32 s15, 0x20000                                     // 000000003574: BE8F00FF 00020000
	s_mov_b32 s19, 0x20000                                     // 00000000357C: BE9300FF 00020000
	s_mov_b32 s27, 0x20000                                     // 000000003584: BE9B00FF 00020000
	s_and_b32 s21, s21, 0xffff                                 // 00000000358C: 8615FF15 0000FFFF
	s_and_b32 s9, s9, 0xffff                                   // 000000003594: 8609FF09 0000FFFF
	s_and_b32 s13, s13, 0xffff                                 // 00000000359C: 860DFF0D 0000FFFF
	s_and_b32 s17, s17, 0xffff                                 // 0000000035A4: 8611FF11 0000FFFF
	s_and_b32 s25, s25, 0xffff                                 // 0000000035AC: 8619FF19 0000FFFF
	s_nop 0                                                    // 0000000035B4: BF800000
	s_nop 0                                                    // 0000000035B8: BF800000
	s_mov_b32 s60, s2                                          // 0000000035BC: BEBC0002
	s_mov_b32 s61, s46                                         // 0000000035C0: BEBD002E
	v_cvt_f32_u32_e32 v12, s61                                 // 0000000035C4: 7E180C3D
	s_sub_i32 s40, 0, s61                                      // 0000000035C8: 81A83D80
	v_rcp_iflag_f32_e32 v12, v12                               // 0000000035CC: 7E18470C
	s_nop 0                                                    // 0000000035D0: BF800000
	v_mul_f32_e32 v12, 0x4f7ffffe, v12                         // 0000000035D4: 0A1818FF 4F7FFFFE
	v_cvt_u32_f32_e32 v12, v12                                 // 0000000035DC: 7E180F0C
	v_mul_lo_u32 v13, s40, v12                                 // 0000000035E0: D285000D 00021828
	v_mul_hi_u32 v13, v12, v13                                 // 0000000035E8: D286000D 00021B0C
	v_add_u32_e32 v12, v12, v13                                // 0000000035F0: 68181B0C
	v_mul_hi_u32 v12, s60, v12                                 // 0000000035F4: D286000C 0002183C
	v_mul_lo_u32 v13, v12, s61                                 // 0000000035FC: D285000D 00007B0C
	v_sub_u32_e32 v15, s60, v13                                // 000000003604: 6A1E1A3C
	v_add_u32_e32 v14, 1, v12                                  // 000000003608: 681C1881
	v_cmp_le_u32_e32 vcc, s61, v15                             // 00000000360C: 7D961E3D
	v_subrev_u32_e32 v13, s61, v15                             // 000000003610: 6C1A1E3D
	s_nop 0                                                    // 000000003614: BF800000
	v_cndmask_b32_e32 v12, v12, v14, vcc                       // 000000003618: 00181D0C
	v_cndmask_b32_e32 v15, v15, v13, vcc                       // 00000000361C: 001E1B0F
	v_add_u32_e32 v13, 1, v12                                  // 000000003620: 681A1881
	v_cmp_le_u32_e32 vcc, s61, v15                             // 000000003624: 7D961E3D
	s_nop 1                                                    // 000000003628: BF800001
	v_cndmask_b32_e32 v15, v12, v13, vcc                       // 00000000362C: 001E1B0C
	s_nop 3                                                    // 000000003630: BF800003
	v_readfirstlane_b32 s62, v15                               // 000000003634: 7E7C050F
	s_nop 3                                                    // 000000003638: BF800003
	s_mov_b32 s34, 0                                           // 00000000363C: BEA20080
	s_mov_b32 s35, 0                                           // 000000003640: BEA30080
	s_mul_i32 s43, 64, s47                                     // 000000003644: 922B2FC0
	s_mul_i32 s44, 64, s76                                     // 000000003648: 922C4CC0
	s_mul_i32 s40, s88, s50                                    // 00000000364C: 92283258
	s_mul_hi_u32 s42, s88, s50                                 // 000000003650: 962A3258
	s_and_b32 s42, s42, 0xffff                                 // 000000003654: 862AFF2A 0000FFFF
	s_mul_i32 s41, s2, s32                                     // 00000000365C: 92292002
	s_add_u32 s40, s40, s41                                    // 000000003660: 80282928
	s_add_u32 s8, s40, s8                                      // 000000003664: 80080828
	s_addc_u32 s9, s42, s9                                     // 000000003668: 8209092A
	s_mul_i32 s40, s88, s79                                    // 00000000366C: 92284F58
	s_mul_hi_u32 s42, s88, s79                                 // 000000003670: 962A4F58
	s_and_b32 s42, s42, 0xffff                                 // 000000003674: 862AFF2A 0000FFFF
	s_mul_i32 s41, s2, s80                                     // 00000000367C: 92295002
	s_add_u32 s40, s40, s41                                    // 000000003680: 80282928
	s_add_u32 s20, s40, s20                                    // 000000003684: 80141428
	s_addc_u32 s21, s42, s21                                   // 000000003688: 8215152A
	s_mul_i32 s40, s2, s82                                     // 00000000368C: 92285202
	s_mul_i32 s41, s88, 4                                      // 000000003690: 92298458
	s_add_i32 s40, s40, s41                                    // 000000003694: 81282928
	s_add_u32 s24, s40, s24                                    // 000000003698: 80181828
	s_addc_u32 s25, 0, s25                                     // 00000000369C: 82191980
	s_mul_i32 s40, s89, s47                                    // 0000000036A0: 92282F59
	s_mul_hi_u32 s42, s89, s47                                 // 0000000036A4: 962A2F59
	s_and_b32 s42, s42, 0xffff                                 // 0000000036A8: 862AFF2A 0000FFFF
	s_mul_i32 s41, s62, s48                                    // 0000000036B0: 9229303E
	s_add_u32 s40, s40, s41                                    // 0000000036B4: 80282928
	s_add_u32 s12, s40, s12                                    // 0000000036B8: 800C0C28
	s_addc_u32 s13, s42, s13                                   // 0000000036BC: 820D0D2A
	s_mul_i32 s40, s89, s76                                    // 0000000036C0: 92284C59
	s_mul_hi_u32 s42, s89, s76                                 // 0000000036C4: 962A4C59
	s_and_b32 s42, s42, 0xffff                                 // 0000000036C8: 862AFF2A 0000FFFF
	s_mul_i32 s41, s62, s77                                    // 0000000036D0: 92294D3E
	s_add_u32 s40, s40, s41                                    // 0000000036D4: 80282928
	s_add_u32 s16, s40, s16                                    // 0000000036D8: 80101028
	s_addc_u32 s17, s42, s17                                   // 0000000036DC: 8211112A
	s_mov_b32 s52, 0                                           // 0000000036E0: BEB40080
	s_mov_b32 s53, 64                                          // 0000000036E4: BEB500C0
	s_mov_b32 s36, 0                                           // 0000000036E8: BEA40080
	s_mov_b32 s29, 0x3fb8aa3b                                  // 0000000036EC: BE9D00FF 3FB8AA3B
	v_mov_b32_e32 v27, 0xff800000                              // 0000000036F4: 7E3602FF FF800000
	s_lshr_b32 s54, s7, 6                                      // 0000000036FC: 8F368607
	s_lshl_b32 s54, s54, 6                                     // 000000003700: 8E368636
	v_lshrrev_b32_e32 v12, 5, v0                               // 000000003704: 20180085
	v_mul_i32_i24_e32 v26, 4, v12                              // 000000003708: 0C341884

000000000000370c <label_0103>:
	s_add_u32 s38, s4, 1                                       // 00000000370C: 80268104
	s_lshl_b32 s38, s38, 8                                     // 000000003710: 8E268826
	s_lshl_b32 s51, s4, 8                                      // 000000003714: 8E338804
	s_sub_i32 s40, s7, s30                                     // 000000003718: 81A81E07
	s_add_i32 s51, s51, s40                                    // 00000000371C: 81332833
	s_ashr_i32 s51, s51, 6                                     // 000000003720: 90338633
	s_lshl_b32 s51, s51, 6                                     // 000000003724: 8E338633
	s_add_i32 s38, s38, s40                                    // 000000003728: 81262826
	s_cmp_lt_i32 s38, s7                                       // 00000000372C: BF040726
	s_cselect_b32 s38, s38, s7                                 // 000000003730: 85260726
	s_cmp_lt_i32 s38, 64                                       // 000000003734: BF04C026
	s_cselect_b32 s38, 64, s38                                 // 000000003738: 852626C0
	s_nop 0                                                    // 00000000373C: BF800000
	s_nop 0                                                    // 000000003740: BF800000
	s_mul_i32 s40, s5, 32                                      // 000000003744: 9228A005
	v_lshrrev_b32_e32 v12, 5, v0                               // 000000003748: 20180085
	v_mul_i32_i24_e32 v12, 4, v12                              // 00000000374C: 0C181884
	v_and_b32_e32 v25, 31, v0                                  // 000000003750: 2632009F
	v_sub_i32 v25, v25, v12                                    // 000000003754: D29D0019 00021919
	s_nop 0                                                    // 00000000375C: BF800000
	v_add_i32 v25, v25, s40                                    // 000000003760: D29C0019 00005119
	s_mov_b32 s39, 0                                           // 000000003768: BEA70080
	v_mov_b32_e32 v13, s29                                     // 00000000376C: 7E1A021D
	v_mov_b32_e32 v12, s28                                     // 000000003770: 7E18021C
	v_mul_f32_e32 v12, s29, v12                                // 000000003774: 0A18181D
	v_rcp_f32_e32 v13, v13                                     // 000000003778: 7E1A450D
	v_mov_b32_e32 v18, 0                                       // 00000000377C: 7E240280
	v_mov_b32_e32 v24, 0xff7fffff                              // 000000003780: 7E3002FF FF7FFFFF
	v_mov_b32_e32 v16, 0                                       // 000000003788: 7E200280
	v_mov_b32_e32 v18, 0                                       // 00000000378C: 7E240280
	v_readfirstlane_b32 s37, v12                               // 000000003790: 7E4A050C
	v_readfirstlane_b32 s45, v13                               // 000000003794: 7E5A050D
	v_rcp_f32_e32 v12, v12                                     // 000000003798: 7E18450C
	s_nop 1                                                    // 00000000379C: BF800001
	v_mul_f32_e32 v12, v24, v12                                // 0000000037A0: 0A181918
	v_max_f32_e32 v24, v24, v12                                // 0000000037A4: 16301918
	s_mul_i32 s59, s4, s31                                     // 0000000037A8: 923B1F04
	v_lshrrev_b32_e32 v12, 3, v0                               // 0000000037AC: 20180083
	v_and_b32_e32 v13, 1, v12                                  // 0000000037B0: 261A1881
	v_mul_i32_i24_e32 v13, s50, v13                            // 0000000037B4: 0C1A1A32
	v_lshrrev_b32_e32 v14, 1, v12                              // 0000000037B8: 201C1881
	v_mul_i32_i24_e32 v14, s50, v14                            // 0000000037BC: 0C1C1C32
	v_mul_i32_i24_e32 v14, 32, v14                             // 0000000037C0: 0C1C1CA0
	v_and_b32_e32 v12, 7, v0                                   // 0000000037C4: 26180087
	v_lshlrev_b32_e32 v12, 4, v12                              // 0000000037C8: 24181884
	s_mul_i32 s40, s5, s50                                     // 0000000037CC: 92283205
	s_mul_i32 s40, 2, s40                                      // 0000000037D0: 92282882
	s_add_u32 s40, s59, s40                                    // 0000000037D4: 8028283B
	v_add_u32_e32 v4, s40, v12                                 // 0000000037D8: 68081828
	v_add_u32_e32 v4, v13, v4                                  // 0000000037DC: 6808090D
	v_add_u32_e32 v4, v14, v4                                  // 0000000037E0: 6808090E
	s_mul_i32 s40, 16, s50                                     // 0000000037E4: 92283290
	v_add_u32_e32 v5, s40, v4                                  // 0000000037E8: 680A0828
	v_add_u32_e32 v6, 0x80, v4                                 // 0000000037EC: 680C08FF 00000080
	v_add_u32_e32 v7, s40, v6                                  // 0000000037F4: 680E0C28
	s_mul_i32 s63, 0x408, s5                                   // 0000000037F8: 923F05FF 00000408
	s_add_u32 s63, 0x8200, s63                                 // 000000003800: 803F3FFF 00008200
	s_mov_b32 m0, s63                                          // 000000003808: BEFC003F
	s_mul_i32 s40, s50, 0x80                                   // 00000000380C: 9228FF32 00000080
	buffer_load_dwordx4 v4, s[8:11], 0 offen lds               // 000000003814: E05D1000 80020004
	s_add_u32 m0, 0x2040, m0                                   // 00000000381C: 807C7CFF 00002040
	v_add_u32_e32 v4, s40, v4                                  // 000000003824: 68080828
	v_mov_b32_e32 v96, 0                                       // 000000003828: 7EC00280
	v_mov_b32_e32 v97, 0                                       // 00000000382C: 7EC20280
	v_mov_b32_e32 v98, 0                                       // 000000003830: 7EC40280
	v_mov_b32_e32 v99, 0                                       // 000000003834: 7EC60280
	v_mov_b32_e32 v100, 0                                      // 000000003838: 7EC80280
	v_mov_b32_e32 v101, 0                                      // 00000000383C: 7ECA0280
	v_mov_b32_e32 v102, 0                                      // 000000003840: 7ECC0280
	v_mov_b32_e32 v103, 0                                      // 000000003844: 7ECE0280
	v_mov_b32_e32 v104, 0                                      // 000000003848: 7ED00280
	v_mov_b32_e32 v105, 0                                      // 00000000384C: 7ED20280
	v_mov_b32_e32 v106, 0                                      // 000000003850: 7ED40280
	v_mov_b32_e32 v107, 0                                      // 000000003854: 7ED60280
	v_mov_b32_e32 v108, 0                                      // 000000003858: 7ED80280
	v_mov_b32_e32 v109, 0                                      // 00000000385C: 7EDA0280
	v_mov_b32_e32 v110, 0                                      // 000000003860: 7EDC0280
	v_mov_b32_e32 v111, 0                                      // 000000003864: 7EDE0280
	buffer_load_dwordx4 v5, s[8:11], 0 offen lds               // 000000003868: E05D1000 80020005
	s_add_u32 m0, 0x2040, m0                                   // 000000003870: 807C7CFF 00002040
	v_add_u32_e32 v5, s40, v5                                  // 000000003878: 680A0A28
	v_mov_b32_e32 v112, 0                                      // 00000000387C: 7EE00280
	v_mov_b32_e32 v113, 0                                      // 000000003880: 7EE20280
	v_mov_b32_e32 v114, 0                                      // 000000003884: 7EE40280
	v_mov_b32_e32 v115, 0                                      // 000000003888: 7EE60280
	v_mov_b32_e32 v116, 0                                      // 00000000388C: 7EE80280
	v_mov_b32_e32 v117, 0                                      // 000000003890: 7EEA0280
	v_mov_b32_e32 v118, 0                                      // 000000003894: 7EEC0280
	v_mov_b32_e32 v119, 0                                      // 000000003898: 7EEE0280
	v_mov_b32_e32 v120, 0                                      // 00000000389C: 7EF00280
	v_mov_b32_e32 v121, 0                                      // 0000000038A0: 7EF20280
	v_mov_b32_e32 v122, 0                                      // 0000000038A4: 7EF40280
	v_mov_b32_e32 v123, 0                                      // 0000000038A8: 7EF60280
	v_mov_b32_e32 v124, 0                                      // 0000000038AC: 7EF80280
	v_mov_b32_e32 v125, 0                                      // 0000000038B0: 7EFA0280
	v_mov_b32_e32 v126, 0                                      // 0000000038B4: 7EFC0280
	v_mov_b32_e32 v127, 0                                      // 0000000038B8: 7EFE0280
	buffer_load_dwordx4 v6, s[8:11], 0 offen lds               // 0000000038BC: E05D1000 80020006
	s_add_u32 m0, 0x2040, m0                                   // 0000000038C4: 807C7CFF 00002040
	v_add_u32_e32 v6, s40, v6                                  // 0000000038CC: 680C0C28
	v_mov_b32_e32 v128, 0                                      // 0000000038D0: 7F000280
	v_mov_b32_e32 v129, 0                                      // 0000000038D4: 7F020280
	v_mov_b32_e32 v130, 0                                      // 0000000038D8: 7F040280
	v_mov_b32_e32 v131, 0                                      // 0000000038DC: 7F060280
	v_mov_b32_e32 v132, 0                                      // 0000000038E0: 7F080280
	v_mov_b32_e32 v133, 0                                      // 0000000038E4: 7F0A0280
	v_mov_b32_e32 v134, 0                                      // 0000000038E8: 7F0C0280
	v_mov_b32_e32 v135, 0                                      // 0000000038EC: 7F0E0280
	v_mov_b32_e32 v136, 0                                      // 0000000038F0: 7F100280
	v_mov_b32_e32 v137, 0                                      // 0000000038F4: 7F120280
	v_mov_b32_e32 v138, 0                                      // 0000000038F8: 7F140280
	v_mov_b32_e32 v139, 0                                      // 0000000038FC: 7F160280
	v_mov_b32_e32 v140, 0                                      // 000000003900: 7F180280
	v_mov_b32_e32 v141, 0                                      // 000000003904: 7F1A0280
	v_mov_b32_e32 v142, 0                                      // 000000003908: 7F1C0280
	v_mov_b32_e32 v143, 0                                      // 00000000390C: 7F1E0280
	buffer_load_dwordx4 v7, s[8:11], 0 offen lds               // 000000003910: E05D1000 80020007
	s_add_u32 m0, 0x2040, m0                                   // 000000003918: 807C7CFF 00002040
	v_add_u32_e32 v7, s40, v7                                  // 000000003920: 680E0E28
	v_mov_b32_e32 v144, 0                                      // 000000003924: 7F200280
	v_mov_b32_e32 v145, 0                                      // 000000003928: 7F220280
	v_mov_b32_e32 v146, 0                                      // 00000000392C: 7F240280
	v_mov_b32_e32 v147, 0                                      // 000000003930: 7F260280
	v_mov_b32_e32 v148, 0                                      // 000000003934: 7F280280
	v_mov_b32_e32 v149, 0                                      // 000000003938: 7F2A0280
	v_mov_b32_e32 v150, 0                                      // 00000000393C: 7F2C0280
	v_mov_b32_e32 v151, 0                                      // 000000003940: 7F2E0280
	v_mov_b32_e32 v152, 0                                      // 000000003944: 7F300280
	v_mov_b32_e32 v153, 0                                      // 000000003948: 7F320280
	v_mov_b32_e32 v154, 0                                      // 00000000394C: 7F340280
	v_mov_b32_e32 v155, 0                                      // 000000003950: 7F360280
	v_mov_b32_e32 v156, 0                                      // 000000003954: 7F380280
	v_mov_b32_e32 v157, 0                                      // 000000003958: 7F3A0280
	v_mov_b32_e32 v158, 0                                      // 00000000395C: 7F3C0280
	v_mov_b32_e32 v159, 0                                      // 000000003960: 7F3E0280
	buffer_load_dwordx4 v4, s[8:11], 0 offen lds               // 000000003964: E05D1000 80020004
	s_add_u32 m0, 0x2040, m0                                   // 00000000396C: 807C7CFF 00002040
	v_add_u32_e32 v4, s40, v4                                  // 000000003974: 68080828
	buffer_load_dwordx4 v5, s[8:11], 0 offen lds               // 000000003978: E05D1000 80020005
	s_add_u32 m0, 0x2040, m0                                   // 000000003980: 807C7CFF 00002040
	v_add_u32_e32 v5, s40, v5                                  // 000000003988: 680A0A28
	buffer_load_dwordx4 v6, s[8:11], 0 offen lds               // 00000000398C: E05D1000 80020006
	s_add_u32 m0, 0x2040, m0                                   // 000000003994: 807C7CFF 00002040
	v_add_u32_e32 v6, s40, v6                                  // 00000000399C: 680C0C28
	buffer_load_dwordx4 v7, s[8:11], 0 offen lds               // 0000000039A0: E05D1000 80020007
	s_add_u32 m0, 0x2040, m0                                   // 0000000039A8: 807C7CFF 00002040
	v_add_u32_e32 v7, s40, v7                                  // 0000000039B0: 680E0E28
	s_cmp_le_u32 s7, 0                                         // 0000000039B4: BF0B8007
	s_cbranch_scc1 label_1202                                  // 0000000039B8: BF851053
	v_and_b32_e32 v12, 31, v0                                  // 0000000039BC: 2618009F
	v_and_b32_e32 v13, 1, v12                                  // 0000000039C0: 261A1881
	v_mul_i32_i24_e32 v13, 0x80, v13                           // 0000000039C4: 0C1A1AFF 00000080
	v_lshrrev_b32_e32 v14, 1, v12                              // 0000000039CC: 201C1881
	v_mul_i32_i24_e32 v14, 0x408, v14                          // 0000000039D0: 0C1C1CFF 00000408
	v_lshrrev_b32_e32 v12, 5, v0                               // 0000000039D8: 20180085
	v_mul_i32_i24_e32 v12, 16, v12                             // 0000000039DC: 0C181890
	v_add_u32_e32 v2, v12, v13                                 // 0000000039E0: 68041B0C
	v_add_u32_e32 v2, v14, v2                                  // 0000000039E4: 6804050E
	v_add_u32_e32 v2, 0x8200, v2                               // 0000000039E8: 680404FF 00008200
	s_and_b32 s40, 3, s5                                       // 0000000039F0: 86280583
	s_mul_i32 s40, s40, 0x100                                  // 0000000039F4: 9228FF28 00000100
	v_add_u32_e32 v2, s40, v2                                  // 0000000039FC: 68040428
	s_lshr_b32 s40, s5, 2                                      // 000000003A00: 8F288205
	s_mul_i32 s40, s40, 0x8100                                 // 000000003A04: 9228FF28 00008100
	v_add_u32_e32 v2, s40, v2                                  // 000000003A0C: 68040428
	v_add_u32_e32 v3, 0x4080, v2                               // 000000003A10: 680604FF 00004080
	v_lshrrev_b32_e32 v12, 5, v0                               // 000000003A18: 20180085
	v_mul_i32_i24_e32 v8, 16, v12                              // 000000003A1C: 0C101890
	v_and_b32_e32 v12, 31, v0                                  // 000000003A20: 2618009F
	v_lshrrev_b32_e32 v12, 2, v12                              // 000000003A24: 20181882
	v_and_b32_e32 v13, 1, v12                                  // 000000003A28: 261A1881
	v_mul_i32_i24_e32 v13, 0x100, v13                          // 000000003A2C: 0C1A1AFF 00000100
	v_lshrrev_b32_e32 v12, 1, v12                              // 000000003A34: 20181881
	v_mul_i32_i24_e32 v12, 2, v12                              // 000000003A38: 0C181882
	v_mul_i32_i24_e32 v12, 0x410, v12                          // 000000003A3C: 0C1818FF 00000410
	v_add_u32_e32 v8, v8, v12                                  // 000000003A44: 68101908
	v_add_u32_e32 v8, v8, v13                                  // 000000003A48: 68101B08
	v_and_b32_e32 v12, 3, v0                                   // 000000003A4C: 26180083
	v_and_b32_e32 v13, 1, v12                                  // 000000003A50: 261A1881
	v_mul_i32_i24_e32 v13, 0x80, v13                           // 000000003A54: 0C1A1AFF 00000080
	v_lshrrev_b32_e32 v12, 1, v12                              // 000000003A5C: 20181881
	v_mul_i32_i24_e32 v12, 0x410, v12                          // 000000003A60: 0C1818FF 00000410
	v_add_u32_e32 v8, v8, v12                                  // 000000003A68: 68101908
	v_add_u32_e32 v8, v8, v13                                  // 000000003A6C: 68101B08
	v_add_u32_e32 v8, 0, v8                                    // 000000003A70: 68101080
	v_add_u32_e32 v9, 0x4100, v8                               // 000000003A74: 681210FF 00004100
	v_lshrrev_b32_e32 v12, 2, v0                               // 000000003A7C: 20180082
	v_and_b32_e32 v12, 3, v12                                  // 000000003A80: 26181883
	v_and_b32_e32 v13, 1, v12                                  // 000000003A84: 261A1881
	v_mul_i32_i24_e32 v13, 0x80, v13                           // 000000003A88: 0C1A1AFF 00000080
	v_lshrrev_b32_e32 v12, 1, v12                              // 000000003A90: 20181881
	v_mul_i32_i24_e32 v12, 0x440, v12                          // 000000003A94: 0C1818FF 00000440
	v_add_u32_e32 v10, v13, v12                                // 000000003A9C: 6814190D
	v_and_b32_e32 v12, 3, v0                                   // 000000003AA0: 26180083
	v_mul_i32_i24_e32 v12, 8, v12                              // 000000003AA4: 0C181888
	v_add_u32_e32 v10, v12, v10                                // 000000003AA8: 6814150C
	v_lshrrev_b32_e32 v12, 4, v0                               // 000000003AAC: 20180084
	v_and_b32_e32 v13, 1, v12                                  // 000000003AB0: 261A1881
	v_mul_i32_i24_e32 v13, 32, v13                             // 000000003AB4: 0C1A1AA0
	v_add_u32_e32 v10, v13, v10                                // 000000003AB8: 6814150D
	v_lshrrev_b32_e32 v13, 1, v12                              // 000000003ABC: 201A1881
	v_mul_i32_i24_e32 v13, 0x100, v13                          // 000000003AC0: 0C1A1AFF 00000100
	v_add_u32_e32 v10, v13, v10                                // 000000003AC8: 6814150D
	v_add_u32_e32 v10, 0x8200, v10                             // 000000003ACC: 681414FF 00008200
	v_add_u32_e32 v11, 0x4400, v10                             // 000000003AD4: 681614FF 00004400
	v_lshrrev_b32_e32 v12, 3, v0                               // 000000003ADC: 20180083
	v_lshrrev_b32_e32 v13, 2, v12                              // 000000003AE0: 201A1882
	v_lshlrev_b32_e32 v13, 5, v13                              // 000000003AE4: 241A1A85
	v_and_b32_e32 v12, 3, v12                                  // 000000003AE8: 26181883
	v_lshrrev_b32_e32 v12, 1, v12                              // 000000003AEC: 20181881
	v_lshlrev_b32_e32 v12, 2, v12                              // 000000003AF0: 24181882
	v_add_u32_e32 v13, v13, v12                                // 000000003AF4: 681A190D
	v_lshrrev_b32_e32 v12, 3, v0                               // 000000003AF8: 20180083
	v_and_b32_e32 v12, 1, v12                                  // 000000003AFC: 26181881
	v_add_u32_e32 v12, v13, v12                                // 000000003B00: 6818190D
	v_mul_i32_i24_e32 v12, s47, v12                            // 000000003B04: 0C18182F
	v_and_b32_e32 v4, 7, v0                                    // 000000003B08: 26080087
	v_lshlrev_b32_e32 v4, 4, v4                                // 000000003B0C: 24080884
	v_add_u32_e32 v4, v12, v4                                  // 000000003B10: 6808090C
	s_and_b32 s40, 1, s5                                       // 000000003B14: 86280581
	s_mul_i32 s40, s40, s47                                    // 000000003B18: 92282F28
	s_mul_i32 s40, s40, 2                                      // 000000003B1C: 92288228
	s_and_b32 s42, 3, s5                                       // 000000003B20: 862A0583
	s_lshr_b32 s41, s42, 1                                     // 000000003B24: 8F29812A
	s_mul_i32 s41, s41, s47                                    // 000000003B28: 92292F29
	s_mul_i32 s41, s41, 8                                      // 000000003B2C: 92298829
	s_lshr_b32 s42, s5, 2                                      // 000000003B30: 8F2A8205
	s_mul_i32 s42, s42, s47                                    // 000000003B34: 922A2F2A
	s_mul_i32 s42, s42, 16                                     // 000000003B38: 922A902A
	s_add_u32 s40, s41, s40                                    // 000000003B3C: 80282829
	s_add_u32 s40, s42, s40                                    // 000000003B40: 8028282A
	v_add_u32_e32 v4, s40, v4                                  // 000000003B44: 68080828
	v_add_u32_e32 v5, 0x80, v4                                 // 000000003B48: 680A08FF 00000080
	s_mul_i32 s64, 0x410, s5                                   // 000000003B50: 924005FF 00000410
	s_add_u32 s64, 0, s64                                      // 000000003B58: 80404080
	s_add_u32 s65, 0x4100, s64                                 // 000000003B5C: 804140FF 00004100
	v_lshrrev_b32_e32 v12, 3, v0                               // 000000003B64: 20180083
	v_lshrrev_b32_e32 v13, 1, v12                              // 000000003B68: 201A1881
	v_lshlrev_b32_e32 v13, 2, v13                              // 000000003B6C: 241A1A82
	v_and_b32_e32 v14, 1, v12                                  // 000000003B70: 261C1881
	v_add_u32_e32 v13, v14, v13                                // 000000003B74: 681A1B0E
	v_mul_i32_i24_e32 v13, s76, v13                            // 000000003B78: 0C1A1A4C
	v_and_b32_e32 v12, 7, v0                                   // 000000003B7C: 26180087
	v_lshlrev_b32_e32 v12, 4, v12                              // 000000003B80: 24181884
	v_add_u32_e32 v12, v13, v12                                // 000000003B84: 6818190D
	s_and_b32 s40, 1, s5                                       // 000000003B88: 86280581
	s_and_b32 s42, 3, s5                                       // 000000003B8C: 862A0583
	s_lshr_b32 s41, s42, 1                                     // 000000003B90: 8F29812A
	s_mul_i32 s40, s40, s76                                    // 000000003B94: 92284C28
	s_mul_i32 s40, s40, 2                                      // 000000003B98: 92288228
	s_mul_i32 s41, s41, s76                                    // 000000003B9C: 92294C29
	s_mul_i32 s41, s41, 16                                     // 000000003BA0: 92299029
	s_lshr_b32 s42, s5, 2                                      // 000000003BA4: 8F2A8205
	s_mul_i32 s42, s42, s76                                    // 000000003BA8: 922A4C2A
	s_mul_i32 s42, s42, 32                                     // 000000003BAC: 922AA02A
	s_add_u32 s40, s41, s40                                    // 000000003BB0: 80282829
	s_add_u32 s40, s42, s40                                    // 000000003BB4: 8028282A
	v_add_u32_e32 v6, s40, v12                                 // 000000003BB8: 680C1828
	v_add_u32_e32 v7, 0x80, v6                                 // 000000003BBC: 680E0CFF 00000080
	s_mul_i32 s66, 0x440, s5                                   // 000000003BC4: 924205FF 00000440
	s_add_u32 s66, 0x8200, s66                                 // 000000003BCC: 804242FF 00008200
	s_add_u32 s67, 0x4400, s66                                 // 000000003BD4: 804342FF 00004400
	s_mov_b32 m0, s64                                          // 000000003BDC: BEFC0040
	buffer_load_dwordx4 v4, s[12:15], s34 offen lds            // 000000003BE0: E05D1000 22030004
	s_add_u32 m0, 0x2080, m0                                   // 000000003BE8: 807C7CFF 00002080
	buffer_load_dwordx4 v5, s[12:15], s34 offen lds            // 000000003BF0: E05D1000 22030005
	s_add_u32 m0, 0x2080, m0                                   // 000000003BF8: 807C7CFF 00002080
	s_add_i32 s34, s43, s34                                    // 000000003C00: 8122222B
	s_waitcnt vmcnt(2)                                         // 000000003C04: BF8C0F72
	s_barrier                                                  // 000000003C08: BF8A0000
	ds_read_b64 v[160:161], v2                                 // 000000003C0C: D8EC0000 A0000002
	ds_read_b64 v[162:163], v2 offset:8                        // 000000003C14: D8EC0008 A2000002
	ds_read_b64 v[164:165], v2 offset:32                       // 000000003C1C: D8EC0020 A4000002
	ds_read_b64 v[166:167], v2 offset:40                       // 000000003C24: D8EC0028 A6000002
	ds_read_b64 v[168:169], v2 offset:64                       // 000000003C2C: D8EC0040 A8000002
	ds_read_b64 v[170:171], v2 offset:72                       // 000000003C34: D8EC0048 AA000002
	ds_read_b64 v[172:173], v2 offset:96                       // 000000003C3C: D8EC0060 AC000002
	ds_read_b64 v[174:175], v2 offset:104                      // 000000003C44: D8EC0068 AE000002
	ds_read_b64 v[176:177], v3                                 // 000000003C4C: D8EC0000 B0000003
	ds_read_b64 v[178:179], v3 offset:8                        // 000000003C54: D8EC0008 B2000003
	ds_read_b64 v[180:181], v3 offset:32                       // 000000003C5C: D8EC0020 B4000003
	ds_read_b64 v[182:183], v3 offset:40                       // 000000003C64: D8EC0028 B6000003
	ds_read_b64 v[184:185], v3 offset:64                       // 000000003C6C: D8EC0040 B8000003
	ds_read_b64 v[186:187], v3 offset:72                       // 000000003C74: D8EC0048 BA000003
	ds_read_b64 v[188:189], v3 offset:96                       // 000000003C7C: D8EC0060 BC000003
	ds_read_b64 v[190:191], v3 offset:104                      // 000000003C84: D8EC0068 BE000003
	s_waitcnt vmcnt(0)                                         // 000000003C8C: BF8C0F70
	s_barrier                                                  // 000000003C90: BF8A0000
	ds_read_b128 v[192:195], v8                                // 000000003C94: D9FE0000 C0000008
	ds_read_b128 v[208:211], v8 offset:512                     // 000000003C9C: D9FE0200 D0000008
	ds_read_b128 v[196:199], v8 offset:32                      // 000000003CA4: D9FE0020 C4000008
	ds_read_b128 v[212:215], v8 offset:544                     // 000000003CAC: D9FE0220 D4000008
	ds_read_b128 v[200:203], v8 offset:64                      // 000000003CB4: D9FE0040 C8000008
	ds_read_b128 v[216:219], v8 offset:576                     // 000000003CBC: D9FE0240 D8000008
	ds_read_b128 v[204:207], v8 offset:96                      // 000000003CC4: D9FE0060 CC000008
	ds_read_b128 v[220:223], v8 offset:608                     // 000000003CCC: D9FE0260 DC000008
	ds_read_b128 v[224:227], v8 offset:8320                    // 000000003CD4: D9FE2080 E0000008
	ds_read_b128 v[240:243], v8 offset:8832                    // 000000003CDC: D9FE2280 F0000008
	ds_read_b128 v[228:231], v8 offset:8352                    // 000000003CE4: D9FE20A0 E4000008
	ds_read_b128 v[244:247], v8 offset:8864                    // 000000003CEC: D9FE22A0 F4000008
	ds_read_b128 v[232:235], v8 offset:8384                    // 000000003CF4: D9FE20C0 E8000008
	ds_read_b128 v[248:251], v8 offset:8896                    // 000000003CFC: D9FE22C0 F8000008
	ds_read_b128 v[236:239], v8 offset:8416                    // 000000003D04: D9FE20E0 EC000008
	ds_read_b128 v[252:255], v8 offset:8928                    // 000000003D0C: D9FE22E0 FC000008
	s_waitcnt lgkmcnt(0)                                       // 000000003D14: BF8CC07F
	s_barrier                                                  // 000000003D18: BF8A0000
	s_mov_b32 m0, s65                                          // 000000003D1C: BEFC0041
	v_mfma_f32_32x32x16_bf16 v[32:47], v[192:195], v[160:163], 0// 000000003D20: D3B70020 020341C0
	buffer_load_dwordx4 v4, s[12:15], s34 offen lds            // 000000003D28: E05D1000 22030004
	s_add_u32 m0, 0x2080, m0                                   // 000000003D30: 807C7CFF 00002080
	v_mfma_f32_32x32x16_bf16 v[32:47], v[196:199], v[164:167], v[32:47]// 000000003D38: D3B70020 048349C4
	v_mfma_f32_32x32x16_bf16 v[32:47], v[200:203], v[168:171], v[32:47]// 000000003D40: D3B70020 048351C8
	buffer_load_dwordx4 v5, s[12:15], s34 offen lds            // 000000003D48: E05D1000 22030005
	s_add_u32 m0, 0x2080, m0                                   // 000000003D50: 807C7CFF 00002080
	s_mov_b32 m0, s66                                          // 000000003D58: BEFC0042
	v_mfma_f32_32x32x16_bf16 v[32:47], v[204:207], v[172:175], v[32:47]// 000000003D5C: D3B70020 048359CC
	v_mfma_f32_32x32x16_bf16 v[32:47], v[224:227], v[176:179], v[32:47]// 000000003D64: D3B70020 048361E0
	buffer_load_dwordx4 v6, s[16:19], s35 offen lds            // 000000003D6C: E05D1000 23040006
	s_add_u32 m0, 0x2200, m0                                   // 000000003D74: 807C7CFF 00002200
	v_mfma_f32_32x32x16_bf16 v[32:47], v[228:231], v[180:183], v[32:47]// 000000003D7C: D3B70020 048369E4
	v_mfma_f32_32x32x16_bf16 v[32:47], v[232:235], v[184:187], v[32:47]// 000000003D84: D3B70020 048371E8
	buffer_load_dwordx4 v7, s[16:19], s35 offen lds            // 000000003D8C: E05D1000 23040007
	s_add_u32 m0, 0x2200, m0                                   // 000000003D94: 807C7CFF 00002200
	v_mfma_f32_32x32x16_bf16 v[32:47], v[236:239], v[188:191], v[32:47]// 000000003D9C: D3B70020 048379EC
	v_mfma_f32_32x32x16_bf16 v[48:63], v[208:211], v[160:163], 0// 000000003DA4: D3B70030 020341D0
	v_mfma_f32_32x32x16_bf16 v[48:63], v[212:215], v[164:167], v[48:63]// 000000003DAC: D3B70030 04C349D4
	v_mfma_f32_32x32x16_bf16 v[48:63], v[216:219], v[168:171], v[48:63]// 000000003DB4: D3B70030 04C351D8
	v_mfma_f32_32x32x16_bf16 v[48:63], v[220:223], v[172:175], v[48:63]// 000000003DBC: D3B70030 04C359DC
	v_mfma_f32_32x32x16_bf16 v[48:63], v[240:243], v[176:179], v[48:63]// 000000003DC4: D3B70030 04C361F0
	v_mfma_f32_32x32x16_bf16 v[48:63], v[244:247], v[180:183], v[48:63]// 000000003DCC: D3B70030 04C369F4
	v_mfma_f32_32x32x16_bf16 v[48:63], v[248:251], v[184:187], v[48:63]// 000000003DD4: D3B70030 04C371F8
	v_mfma_f32_32x32x16_bf16 v[48:63], v[252:255], v[188:191], v[48:63]// 000000003DDC: D3B70030 04C379FC
	s_add_i32 s34, s43, s34                                    // 000000003DE4: 8122222B
	s_add_i32 s35, s44, s35                                    // 000000003DE8: 8123232C
	s_cmp_lt_i32 s52, s51                                      // 000000003DEC: BF043334
	s_cbranch_scc1 label_03C9                                  // 000000003DF0: BF85010C
	s_sub_i32 s40, s51, s52                                    // 000000003DF4: 81A83433
	s_sub_i32 s41, s7, s30                                     // 000000003DF8: 81A91E07
	s_and_b32 s41, s41, 63                                     // 000000003DFC: 8629BF29
	s_add_i32 s40, s40, s41                                    // 000000003E00: 81282928
	v_add_i32 v12, v25, s40                                    // 000000003E04: D29C000C 00005119
	s_nop 0                                                    // 000000003E0C: BF800000
	v_cmp_lt_i32_e64 s[68:69], v12, 0                          // 000000003E10: D0C10044 0001010C
	v_cmp_lt_i32_e64 s[70:71], v12, 1                          // 000000003E18: D0C10046 0001030C
	v_cndmask_b32_e64 v32, v32, v27, s[68:69]                  // 000000003E20: D1000020 01123720
	v_cndmask_b32_e64 v33, v33, v27, s[70:71]                  // 000000003E28: D1000021 011A3721
	v_cmp_lt_i32_e64 s[68:69], v12, 2                          // 000000003E30: D0C10044 0001050C
	v_cmp_lt_i32_e64 s[70:71], v12, 3                          // 000000003E38: D0C10046 0001070C
	v_cndmask_b32_e64 v34, v34, v27, s[68:69]                  // 000000003E40: D1000022 01123722
	v_cndmask_b32_e64 v35, v35, v27, s[70:71]                  // 000000003E48: D1000023 011A3723
	v_cmp_lt_i32_e64 s[68:69], v12, 8                          // 000000003E50: D0C10044 0001110C
	v_cmp_lt_i32_e64 s[70:71], v12, 9                          // 000000003E58: D0C10046 0001130C
	v_cndmask_b32_e64 v36, v36, v27, s[68:69]                  // 000000003E60: D1000024 01123724
	v_cndmask_b32_e64 v37, v37, v27, s[70:71]                  // 000000003E68: D1000025 011A3725
	v_cmp_lt_i32_e64 s[68:69], v12, 10                         // 000000003E70: D0C10044 0001150C
	v_cmp_lt_i32_e64 s[70:71], v12, 11                         // 000000003E78: D0C10046 0001170C
	v_cndmask_b32_e64 v38, v38, v27, s[68:69]                  // 000000003E80: D1000026 01123726
	v_cndmask_b32_e64 v39, v39, v27, s[70:71]                  // 000000003E88: D1000027 011A3727
	v_cmp_lt_i32_e64 s[68:69], v12, 16                         // 000000003E90: D0C10044 0001210C
	v_cmp_lt_i32_e64 s[70:71], v12, 17                         // 000000003E98: D0C10046 0001230C
	v_cndmask_b32_e64 v40, v40, v27, s[68:69]                  // 000000003EA0: D1000028 01123728
	v_cndmask_b32_e64 v41, v41, v27, s[70:71]                  // 000000003EA8: D1000029 011A3729
	v_cmp_lt_i32_e64 s[68:69], v12, 18                         // 000000003EB0: D0C10044 0001250C
	v_cmp_lt_i32_e64 s[70:71], v12, 19                         // 000000003EB8: D0C10046 0001270C
	v_cndmask_b32_e64 v42, v42, v27, s[68:69]                  // 000000003EC0: D100002A 0112372A
	v_cndmask_b32_e64 v43, v43, v27, s[70:71]                  // 000000003EC8: D100002B 011A372B
	v_cmp_lt_i32_e64 s[68:69], v12, 24                         // 000000003ED0: D0C10044 0001310C
	v_cmp_lt_i32_e64 s[70:71], v12, 25                         // 000000003ED8: D0C10046 0001330C
	v_cndmask_b32_e64 v44, v44, v27, s[68:69]                  // 000000003EE0: D100002C 0112372C
	v_cndmask_b32_e64 v45, v45, v27, s[70:71]                  // 000000003EE8: D100002D 011A372D
	v_cmp_lt_i32_e64 s[68:69], v12, 26                         // 000000003EF0: D0C10044 0001350C
	v_cmp_lt_i32_e64 s[70:71], v12, 27                         // 000000003EF8: D0C10046 0001370C
	v_cndmask_b32_e64 v46, v46, v27, s[68:69]                  // 000000003F00: D100002E 0112372E
	v_cndmask_b32_e64 v47, v47, v27, s[70:71]                  // 000000003F08: D100002F 011A372F
	v_cmp_lt_i32_e64 s[68:69], v12, 32                         // 000000003F10: D0C10044 0001410C
	v_cmp_lt_i32_e64 s[70:71], v12, 33                         // 000000003F18: D0C10046 0001430C
	v_cndmask_b32_e64 v48, v48, v27, s[68:69]                  // 000000003F20: D1000030 01123730
	v_cndmask_b32_e64 v49, v49, v27, s[70:71]                  // 000000003F28: D1000031 011A3731
	v_cmp_lt_i32_e64 s[68:69], v12, 34                         // 000000003F30: D0C10044 0001450C
	v_cmp_lt_i32_e64 s[70:71], v12, 35                         // 000000003F38: D0C10046 0001470C
	v_cndmask_b32_e64 v50, v50, v27, s[68:69]                  // 000000003F40: D1000032 01123732
	v_cndmask_b32_e64 v51, v51, v27, s[70:71]                  // 000000003F48: D1000033 011A3733
	v_cmp_lt_i32_e64 s[68:69], v12, 40                         // 000000003F50: D0C10044 0001510C
	v_cmp_lt_i32_e64 s[70:71], v12, 41                         // 000000003F58: D0C10046 0001530C
	v_cndmask_b32_e64 v52, v52, v27, s[68:69]                  // 000000003F60: D1000034 01123734
	v_cndmask_b32_e64 v53, v53, v27, s[70:71]                  // 000000003F68: D1000035 011A3735
	v_cmp_lt_i32_e64 s[68:69], v12, 42                         // 000000003F70: D0C10044 0001550C
	v_cmp_lt_i32_e64 s[70:71], v12, 43                         // 000000003F78: D0C10046 0001570C
	v_cndmask_b32_e64 v54, v54, v27, s[68:69]                  // 000000003F80: D1000036 01123736
	v_cndmask_b32_e64 v55, v55, v27, s[70:71]                  // 000000003F88: D1000037 011A3737
	v_cmp_lt_i32_e64 s[68:69], v12, 48                         // 000000003F90: D0C10044 0001610C
	v_cmp_lt_i32_e64 s[70:71], v12, 49                         // 000000003F98: D0C10046 0001630C
	v_cndmask_b32_e64 v56, v56, v27, s[68:69]                  // 000000003FA0: D1000038 01123738
	v_cndmask_b32_e64 v57, v57, v27, s[70:71]                  // 000000003FA8: D1000039 011A3739
	v_cmp_lt_i32_e64 s[68:69], v12, 50                         // 000000003FB0: D0C10044 0001650C
	v_cmp_lt_i32_e64 s[70:71], v12, 51                         // 000000003FB8: D0C10046 0001670C
	v_cndmask_b32_e64 v58, v58, v27, s[68:69]                  // 000000003FC0: D100003A 0112373A
	v_cndmask_b32_e64 v59, v59, v27, s[70:71]                  // 000000003FC8: D100003B 011A373B
	v_cmp_lt_i32_e64 s[68:69], v12, 56                         // 000000003FD0: D0C10044 0001710C
	v_cmp_lt_i32_e64 s[70:71], v12, 57                         // 000000003FD8: D0C10046 0001730C
	v_cndmask_b32_e64 v60, v60, v27, s[68:69]                  // 000000003FE0: D100003C 0112373C
	v_cndmask_b32_e64 v61, v61, v27, s[70:71]                  // 000000003FE8: D100003D 011A373D
	v_cmp_lt_i32_e64 s[68:69], v12, 58                         // 000000003FF0: D0C10044 0001750C
	v_cmp_lt_i32_e64 s[70:71], v12, 59                         // 000000003FF8: D0C10046 0001770C
	v_cndmask_b32_e64 v62, v62, v27, s[68:69]                  // 000000004000: D100003E 0112373E
	v_cndmask_b32_e64 v63, v63, v27, s[70:71]                  // 000000004008: D100003F 011A373F
	s_cmp_lt_i32 s52, s54                                      // 000000004010: BF043634
	s_cbranch_scc1 label_03C9                                  // 000000004014: BF850083
	s_sub_i32 s40, s7, s52                                     // 000000004018: 81A83407
	v_sub_i32 v12, s40, v26                                    // 00000000401C: D29D000C 00023428
	v_cmp_lt_i32_e64 s[68:69], 0, v12                          // 000000004024: D0C10044 00021880
	v_cmp_lt_i32_e64 s[70:71], 1, v12                          // 00000000402C: D0C10046 00021881
	v_cndmask_b32_e64 v32, v27, v32, s[68:69]                  // 000000004034: D1000020 0112411B
	v_cndmask_b32_e64 v33, v27, v33, s[70:71]                  // 00000000403C: D1000021 011A431B
	v_cmp_lt_i32_e64 s[68:69], 2, v12                          // 000000004044: D0C10044 00021882
	v_cmp_lt_i32_e64 s[70:71], 3, v12                          // 00000000404C: D0C10046 00021883
	v_cndmask_b32_e64 v34, v27, v34, s[68:69]                  // 000000004054: D1000022 0112451B
	v_cndmask_b32_e64 v35, v27, v35, s[70:71]                  // 00000000405C: D1000023 011A471B
	v_cmp_lt_i32_e64 s[68:69], 8, v12                          // 000000004064: D0C10044 00021888
	v_cmp_lt_i32_e64 s[70:71], 9, v12                          // 00000000406C: D0C10046 00021889
	v_cndmask_b32_e64 v36, v27, v36, s[68:69]                  // 000000004074: D1000024 0112491B
	v_cndmask_b32_e64 v37, v27, v37, s[70:71]                  // 00000000407C: D1000025 011A4B1B
	v_cmp_lt_i32_e64 s[68:69], 10, v12                         // 000000004084: D0C10044 0002188A
	v_cmp_lt_i32_e64 s[70:71], 11, v12                         // 00000000408C: D0C10046 0002188B
	v_cndmask_b32_e64 v38, v27, v38, s[68:69]                  // 000000004094: D1000026 01124D1B
	v_cndmask_b32_e64 v39, v27, v39, s[70:71]                  // 00000000409C: D1000027 011A4F1B
	v_cmp_lt_i32_e64 s[68:69], 16, v12                         // 0000000040A4: D0C10044 00021890
	v_cmp_lt_i32_e64 s[70:71], 17, v12                         // 0000000040AC: D0C10046 00021891
	v_cndmask_b32_e64 v40, v27, v40, s[68:69]                  // 0000000040B4: D1000028 0112511B
	v_cndmask_b32_e64 v41, v27, v41, s[70:71]                  // 0000000040BC: D1000029 011A531B
	v_cmp_lt_i32_e64 s[68:69], 18, v12                         // 0000000040C4: D0C10044 00021892
	v_cmp_lt_i32_e64 s[70:71], 19, v12                         // 0000000040CC: D0C10046 00021893
	v_cndmask_b32_e64 v42, v27, v42, s[68:69]                  // 0000000040D4: D100002A 0112551B
	v_cndmask_b32_e64 v43, v27, v43, s[70:71]                  // 0000000040DC: D100002B 011A571B
	v_cmp_lt_i32_e64 s[68:69], 24, v12                         // 0000000040E4: D0C10044 00021898
	v_cmp_lt_i32_e64 s[70:71], 25, v12                         // 0000000040EC: D0C10046 00021899
	v_cndmask_b32_e64 v44, v27, v44, s[68:69]                  // 0000000040F4: D100002C 0112591B
	v_cndmask_b32_e64 v45, v27, v45, s[70:71]                  // 0000000040FC: D100002D 011A5B1B
	v_cmp_lt_i32_e64 s[68:69], 26, v12                         // 000000004104: D0C10044 0002189A
	v_cmp_lt_i32_e64 s[70:71], 27, v12                         // 00000000410C: D0C10046 0002189B
	v_cndmask_b32_e64 v46, v27, v46, s[68:69]                  // 000000004114: D100002E 01125D1B
	v_cndmask_b32_e64 v47, v27, v47, s[70:71]                  // 00000000411C: D100002F 011A5F1B
	v_cmp_lt_i32_e64 s[68:69], 32, v12                         // 000000004124: D0C10044 000218A0
	v_cmp_lt_i32_e64 s[70:71], 33, v12                         // 00000000412C: D0C10046 000218A1
	v_cndmask_b32_e64 v48, v27, v48, s[68:69]                  // 000000004134: D1000030 0112611B
	v_cndmask_b32_e64 v49, v27, v49, s[70:71]                  // 00000000413C: D1000031 011A631B
	v_cmp_lt_i32_e64 s[68:69], 34, v12                         // 000000004144: D0C10044 000218A2
	v_cmp_lt_i32_e64 s[70:71], 35, v12                         // 00000000414C: D0C10046 000218A3
	v_cndmask_b32_e64 v50, v27, v50, s[68:69]                  // 000000004154: D1000032 0112651B
	v_cndmask_b32_e64 v51, v27, v51, s[70:71]                  // 00000000415C: D1000033 011A671B
	v_cmp_lt_i32_e64 s[68:69], 40, v12                         // 000000004164: D0C10044 000218A8
	v_cmp_lt_i32_e64 s[70:71], 41, v12                         // 00000000416C: D0C10046 000218A9
	v_cndmask_b32_e64 v52, v27, v52, s[68:69]                  // 000000004174: D1000034 0112691B
	v_cndmask_b32_e64 v53, v27, v53, s[70:71]                  // 00000000417C: D1000035 011A6B1B
	v_cmp_lt_i32_e64 s[68:69], 42, v12                         // 000000004184: D0C10044 000218AA
	v_cmp_lt_i32_e64 s[70:71], 43, v12                         // 00000000418C: D0C10046 000218AB
	v_cndmask_b32_e64 v54, v27, v54, s[68:69]                  // 000000004194: D1000036 01126D1B
	v_cndmask_b32_e64 v55, v27, v55, s[70:71]                  // 00000000419C: D1000037 011A6F1B
	v_cmp_lt_i32_e64 s[68:69], 48, v12                         // 0000000041A4: D0C10044 000218B0
	v_cmp_lt_i32_e64 s[70:71], 49, v12                         // 0000000041AC: D0C10046 000218B1
	v_cndmask_b32_e64 v56, v27, v56, s[68:69]                  // 0000000041B4: D1000038 0112711B
	v_cndmask_b32_e64 v57, v27, v57, s[70:71]                  // 0000000041BC: D1000039 011A731B
	v_cmp_lt_i32_e64 s[68:69], 50, v12                         // 0000000041C4: D0C10044 000218B2
	v_cmp_lt_i32_e64 s[70:71], 51, v12                         // 0000000041CC: D0C10046 000218B3
	v_cndmask_b32_e64 v58, v27, v58, s[68:69]                  // 0000000041D4: D100003A 0112751B
	v_cndmask_b32_e64 v59, v27, v59, s[70:71]                  // 0000000041DC: D100003B 011A771B
	v_cmp_lt_i32_e64 s[68:69], 56, v12                         // 0000000041E4: D0C10044 000218B8
	v_cmp_lt_i32_e64 s[70:71], 57, v12                         // 0000000041EC: D0C10046 000218B9
	v_cndmask_b32_e64 v60, v27, v60, s[68:69]                  // 0000000041F4: D100003C 0112791B
	v_cndmask_b32_e64 v61, v27, v61, s[70:71]                  // 0000000041FC: D100003D 011A7B1B
	v_cmp_lt_i32_e64 s[68:69], 58, v12                         // 000000004204: D0C10044 000218BA
	v_cmp_lt_i32_e64 s[70:71], 59, v12                         // 00000000420C: D0C10046 000218BB
	v_cndmask_b32_e64 v62, v27, v62, s[68:69]                  // 000000004214: D100003E 01127D1B
	v_cndmask_b32_e64 v63, v27, v63, s[70:71]                  // 00000000421C: D100003F 011A7F1B

0000000000004224 <label_03C9>:
	v_mov_b32_e32 v21, v24                                     // 000000004224: 7E2A0318
	v_max3_f32 v21, v32, v33, v21                              // 000000004228: D1D30015 04564320
	v_max3_f32 v21, v34, v35, v21                              // 000000004230: D1D30015 04564722
	v_max3_f32 v21, v36, v37, v21                              // 000000004238: D1D30015 04564B24
	v_max3_f32 v21, v38, v39, v21                              // 000000004240: D1D30015 04564F26
	v_max3_f32 v21, v40, v41, v21                              // 000000004248: D1D30015 04565328
	v_max3_f32 v21, v42, v43, v21                              // 000000004250: D1D30015 0456572A
	v_max3_f32 v21, v44, v45, v21                              // 000000004258: D1D30015 04565B2C
	v_max3_f32 v21, v46, v47, v21                              // 000000004260: D1D30015 04565F2E
	v_max3_f32 v21, v48, v49, v21                              // 000000004268: D1D30015 04566330
	v_max3_f32 v21, v50, v51, v21                              // 000000004270: D1D30015 04566732
	v_max3_f32 v21, v52, v53, v21                              // 000000004278: D1D30015 04566B34
	v_max3_f32 v21, v54, v55, v21                              // 000000004280: D1D30015 04566F36
	v_max3_f32 v21, v56, v57, v21                              // 000000004288: D1D30015 04567338
	v_max3_f32 v21, v58, v59, v21                              // 000000004290: D1D30015 0456773A
	v_max3_f32 v21, v60, v61, v21                              // 000000004298: D1D30015 04567B3C
	v_max3_f32 v21, v62, v63, v21                              // 0000000042A0: D1D30015 04567F3E
	v_mov_b32_e32 v20, v21                                     // 0000000042A8: 7E280315
	v_nop                                                      // 0000000042AC: 7E000000
	v_nop                                                      // 0000000042B0: 7E000000
	v_permlane32_swap_b32_e32 v20, v21                         // 0000000042B4: 7E28B515
	v_max_f32_e32 v21, v20, v21                                // 0000000042B8: 162A2B14
	v_mov_b32_e32 v16, 0                                       // 0000000042BC: 7E200280
	v_mov_b32_e32 v24, v21                                     // 0000000042C0: 7E300315
	v_mul_f32_e32 v23, s37, v21                                // 0000000042C4: 0A2E2A25
	v_mul_f32_e32 v16, s37, v16                                // 0000000042C8: 0A202025
	v_exp_f32_e32 v16, v16                                     // 0000000042CC: 7E204110
	v_fma_f32 v32, v32, s37, -v23                              // 0000000042D0: D1CB0020 845C4B20
	v_fma_f32 v33, v33, s37, -v23                              // 0000000042D8: D1CB0021 845C4B21
	v_fma_f32 v34, v34, s37, -v23                              // 0000000042E0: D1CB0022 845C4B22
	v_fma_f32 v35, v35, s37, -v23                              // 0000000042E8: D1CB0023 845C4B23
	v_fma_f32 v36, v36, s37, -v23                              // 0000000042F0: D1CB0024 845C4B24
	v_fma_f32 v37, v37, s37, -v23                              // 0000000042F8: D1CB0025 845C4B25
	v_fma_f32 v38, v38, s37, -v23                              // 000000004300: D1CB0026 845C4B26
	v_fma_f32 v39, v39, s37, -v23                              // 000000004308: D1CB0027 845C4B27
	v_fma_f32 v40, v40, s37, -v23                              // 000000004310: D1CB0028 845C4B28
	v_fma_f32 v41, v41, s37, -v23                              // 000000004318: D1CB0029 845C4B29
	v_fma_f32 v42, v42, s37, -v23                              // 000000004320: D1CB002A 845C4B2A
	v_fma_f32 v43, v43, s37, -v23                              // 000000004328: D1CB002B 845C4B2B
	v_fma_f32 v44, v44, s37, -v23                              // 000000004330: D1CB002C 845C4B2C
	v_fma_f32 v45, v45, s37, -v23                              // 000000004338: D1CB002D 845C4B2D
	v_fma_f32 v46, v46, s37, -v23                              // 000000004340: D1CB002E 845C4B2E
	v_fma_f32 v47, v47, s37, -v23                              // 000000004348: D1CB002F 845C4B2F
	v_fma_f32 v48, v48, s37, -v23                              // 000000004350: D1CB0030 845C4B30
	v_fma_f32 v49, v49, s37, -v23                              // 000000004358: D1CB0031 845C4B31
	v_fma_f32 v50, v50, s37, -v23                              // 000000004360: D1CB0032 845C4B32
	v_fma_f32 v51, v51, s37, -v23                              // 000000004368: D1CB0033 845C4B33
	v_fma_f32 v52, v52, s37, -v23                              // 000000004370: D1CB0034 845C4B34
	v_fma_f32 v53, v53, s37, -v23                              // 000000004378: D1CB0035 845C4B35
	v_fma_f32 v54, v54, s37, -v23                              // 000000004380: D1CB0036 845C4B36
	v_fma_f32 v55, v55, s37, -v23                              // 000000004388: D1CB0037 845C4B37
	v_fma_f32 v56, v56, s37, -v23                              // 000000004390: D1CB0038 845C4B38
	v_fma_f32 v57, v57, s37, -v23                              // 000000004398: D1CB0039 845C4B39
	v_fma_f32 v58, v58, s37, -v23                              // 0000000043A0: D1CB003A 845C4B3A
	v_fma_f32 v59, v59, s37, -v23                              // 0000000043A8: D1CB003B 845C4B3B
	v_fma_f32 v60, v60, s37, -v23                              // 0000000043B0: D1CB003C 845C4B3C
	v_fma_f32 v61, v61, s37, -v23                              // 0000000043B8: D1CB003D 845C4B3D
	v_fma_f32 v62, v62, s37, -v23                              // 0000000043C0: D1CB003E 845C4B3E
	v_fma_f32 v63, v63, s37, -v23                              // 0000000043C8: D1CB003F 845C4B3F
	v_exp_f32_e32 v32, v32                                     // 0000000043D0: 7E404120
	v_exp_f32_e32 v33, v33                                     // 0000000043D4: 7E424121
	v_exp_f32_e32 v34, v34                                     // 0000000043D8: 7E444122
	v_exp_f32_e32 v35, v35                                     // 0000000043DC: 7E464123
	v_exp_f32_e32 v36, v36                                     // 0000000043E0: 7E484124
	v_exp_f32_e32 v37, v37                                     // 0000000043E4: 7E4A4125
	v_exp_f32_e32 v38, v38                                     // 0000000043E8: 7E4C4126
	v_exp_f32_e32 v39, v39                                     // 0000000043EC: 7E4E4127
	v_exp_f32_e32 v40, v40                                     // 0000000043F0: 7E504128
	v_exp_f32_e32 v41, v41                                     // 0000000043F4: 7E524129
	v_exp_f32_e32 v42, v42                                     // 0000000043F8: 7E54412A
	v_exp_f32_e32 v43, v43                                     // 0000000043FC: 7E56412B
	v_exp_f32_e32 v44, v44                                     // 000000004400: 7E58412C
	v_exp_f32_e32 v45, v45                                     // 000000004404: 7E5A412D
	v_exp_f32_e32 v46, v46                                     // 000000004408: 7E5C412E
	v_exp_f32_e32 v47, v47                                     // 00000000440C: 7E5E412F
	v_exp_f32_e32 v48, v48                                     // 000000004410: 7E604130
	v_exp_f32_e32 v49, v49                                     // 000000004414: 7E624131
	s_nop 0                                                    // 000000004418: BF800000
	v_mov_b32_e32 v17, v16                                     // 00000000441C: 7E220310
	v_mul_f32_e32 v110, v16, v110                              // 000000004420: 0ADCDD10
	v_mul_f32_e32 v111, v16, v111                              // 000000004424: 0ADEDF10
	v_pk_mul_f32 v[112:113], v[16:17], v[112:113]              // 000000004428: D3B14070 1802E110
	v_pk_mul_f32 v[114:115], v[16:17], v[114:115]              // 000000004430: D3B14072 1802E510
	v_pk_mul_f32 v[116:117], v[16:17], v[116:117]              // 000000004438: D3B14074 1802E910
	v_pk_mul_f32 v[118:119], v[16:17], v[118:119]              // 000000004440: D3B14076 1802ED10
	v_pk_mul_f32 v[120:121], v[16:17], v[120:121]              // 000000004448: D3B14078 1802F110
	v_pk_mul_f32 v[122:123], v[16:17], v[122:123]              // 000000004450: D3B1407A 1802F510
	v_pk_mul_f32 v[124:125], v[16:17], v[124:125]              // 000000004458: D3B1407C 1802F910
	v_pk_mul_f32 v[126:127], v[16:17], v[126:127]              // 000000004460: D3B1407E 1802FD10
	v_pk_mul_f32 v[128:129], v[16:17], v[128:129]              // 000000004468: D3B14080 18030110
	v_pk_mul_f32 v[130:131], v[16:17], v[130:131]              // 000000004470: D3B14082 18030510
	v_pk_mul_f32 v[132:133], v[16:17], v[132:133]              // 000000004478: D3B14084 18030910
	v_pk_mul_f32 v[134:135], v[16:17], v[134:135]              // 000000004480: D3B14086 18030D10
	v_pk_mul_f32 v[136:137], v[16:17], v[136:137]              // 000000004488: D3B14088 18031110
	v_pk_mul_f32 v[138:139], v[16:17], v[138:139]              // 000000004490: D3B1408A 18031510
	v_pk_mul_f32 v[140:141], v[16:17], v[140:141]              // 000000004498: D3B1408C 18031910
	v_pk_mul_f32 v[142:143], v[16:17], v[142:143]              // 0000000044A0: D3B1408E 18031D10
	v_pk_mul_f32 v[144:145], v[16:17], v[144:145]              // 0000000044A8: D3B14090 18032110
	v_pk_mul_f32 v[146:147], v[16:17], v[146:147]              // 0000000044B0: D3B14092 18032510
	v_pk_mul_f32 v[148:149], v[16:17], v[148:149]              // 0000000044B8: D3B14094 18032910
	v_pk_mul_f32 v[150:151], v[16:17], v[150:151]              // 0000000044C0: D3B14096 18032D10
	v_pk_mul_f32 v[152:153], v[16:17], v[152:153]              // 0000000044C8: D3B14098 18033110
	v_pk_mul_f32 v[154:155], v[16:17], v[154:155]              // 0000000044D0: D3B1409A 18033510
	v_pk_mul_f32 v[156:157], v[16:17], v[156:157]              // 0000000044D8: D3B1409C 18033910
	v_pk_mul_f32 v[158:159], v[16:17], v[158:159]              // 0000000044E0: D3B1409E 18033D10
	s_addk_i32 s39, 0x40                                       // 0000000044E8: B7270040
	s_add_i32 s52, s52, s53                                    // 0000000044EC: 81343534
	s_mov_b32 m0, s64                                          // 0000000044F0: BEFC0040
	buffer_load_dwordx4 v4, s[12:15], s34 offen lds            // 0000000044F4: E05D1000 22030004
	s_add_u32 m0, 0x2080, m0                                   // 0000000044FC: 807C7CFF 00002080
	buffer_load_dwordx4 v5, s[12:15], s34 offen lds            // 000000004504: E05D1000 22030005
	s_add_u32 m0, 0x2080, m0                                   // 00000000450C: 807C7CFF 00002080
	s_add_i32 s34, s43, s34                                    // 000000004514: 8122222B
	s_waitcnt vmcnt(4)                                         // 000000004518: BF8C0F74
	s_barrier                                                  // 00000000451C: BF8A0000
	s_cmp_lt_i32 s39, s38                                      // 000000004520: BF042627
	s_cbranch_scc0 label_1076                                  // 000000004524: BF840BEC
	s_cmp_lt_i32 s5, 4                                         // 000000004528: BF048405
	s_cbranch_scc0 label_0A9B                                  // 00000000452C: BF84060F
	s_mov_b32 m0, s67                                          // 000000004530: BEFC0043
	buffer_load_dwordx4 v6, s[16:19], s35 offen lds            // 000000004534: E05D1000 23040006
	s_add_u32 m0, 0x2200, m0                                   // 00000000453C: 807C7CFF 00002200
	buffer_load_dwordx4 v7, s[16:19], s35 offen lds            // 000000004544: E05D1000 23040007
	s_add_u32 m0, 0x2200, m0                                   // 00000000454C: 807C7CFF 00002200
	s_add_i32 s35, s44, s35                                    // 000000004554: 8123232C
	ds_read_b128 v[192:195], v9                                // 000000004558: D9FE0000 C0000009
	ds_read_b128 v[208:211], v9 offset:512                     // 000000004560: D9FE0200 D0000009
	ds_read_b128 v[196:199], v9 offset:32                      // 000000004568: D9FE0020 C4000009
	ds_read_b128 v[212:215], v9 offset:544                     // 000000004570: D9FE0220 D4000009
	ds_read_b128 v[200:203], v9 offset:64                      // 000000004578: D9FE0040 C8000009
	ds_read_b128 v[216:219], v9 offset:576                     // 000000004580: D9FE0240 D8000009
	ds_read_b128 v[204:207], v9 offset:96                      // 000000004588: D9FE0060 CC000009
	ds_read_b128 v[220:223], v9 offset:608                     // 000000004590: D9FE0260 DC000009
	ds_read_b128 v[224:227], v9 offset:8320                    // 000000004598: D9FE2080 E0000009
	ds_read_b128 v[240:243], v9 offset:8832                    // 0000000045A0: D9FE2280 F0000009
	ds_read_b128 v[228:231], v9 offset:8352                    // 0000000045A8: D9FE20A0 E4000009
	ds_read_b128 v[244:247], v9 offset:8864                    // 0000000045B0: D9FE22A0 F4000009
	ds_read_b128 v[232:235], v9 offset:8384                    // 0000000045B8: D9FE20C0 E8000009
	ds_read_b128 v[248:251], v9 offset:8896                    // 0000000045C0: D9FE22C0 F8000009
	ds_read_b128 v[236:239], v9 offset:8416                    // 0000000045C8: D9FE20E0 EC000009
	ds_read_b128 v[252:255], v9 offset:8928                    // 0000000045D0: D9FE22E0 FC000009
	s_setprio 0                                                // 0000000045D8: BF8F0000
	s_barrier                                                  // 0000000045DC: BF8A0000

00000000000045e0 <label_04B8>:
	s_waitcnt lgkmcnt(0)                                       // 0000000045E0: BF8CC07F
	v_nop                                                      // 0000000045E4: 7E000000
	v_mfma_f32_32x32x16_bf16 v[64:79], v[192:195], v[160:163], 0// 0000000045E8: D3B70040 020341C0
	v_exp_f32_e32 v50, v50                                     // 0000000045F0: 7E644132
	v_exp_f32_e32 v51, v51                                     // 0000000045F4: 7E664133
	v_exp_f32_e32 v52, v52                                     // 0000000045F8: 7E684134
	v_mfma_f32_32x32x16_bf16 v[64:79], v[196:199], v[164:167], v[64:79]// 0000000045FC: D3B70040 050349C4
	v_exp_f32_e32 v53, v53                                     // 000000004604: 7E6A4135
	v_exp_f32_e32 v54, v54                                     // 000000004608: 7E6C4136
	v_exp_f32_e32 v55, v55                                     // 00000000460C: 7E6E4137
	v_mfma_f32_32x32x16_bf16 v[64:79], v[200:203], v[168:171], v[64:79]// 000000004610: D3B70040 050351C8
	v_exp_f32_e32 v56, v56                                     // 000000004618: 7E704138
	v_exp_f32_e32 v57, v57                                     // 00000000461C: 7E724139
	v_exp_f32_e32 v58, v58                                     // 000000004620: 7E74413A
	v_mfma_f32_32x32x16_bf16 v[64:79], v[204:207], v[172:175], v[64:79]// 000000004624: D3B70040 050359CC
	v_exp_f32_e32 v59, v59                                     // 00000000462C: 7E76413B
	v_exp_f32_e32 v60, v60                                     // 000000004630: 7E78413C
	v_exp_f32_e32 v61, v61                                     // 000000004634: 7E7A413D
	v_mfma_f32_32x32x16_bf16 v[64:79], v[224:227], v[176:179], v[64:79]// 000000004638: D3B70040 050361E0
	v_exp_f32_e32 v62, v62                                     // 000000004640: 7E7C413E
	v_exp_f32_e32 v63, v63                                     // 000000004644: 7E7E413F
	v_mul_f32_e32 v18, v16, v18                                // 000000004648: 0A242510
	v_add_f32_e32 v19, v33, v32                                // 00000000464C: 02264121
	v_mfma_f32_32x32x16_bf16 v[64:79], v[228:231], v[180:183], v[64:79]// 000000004650: D3B70040 050369E4
	v_add_f32_e32 v19, v34, v19                                // 000000004658: 02262722
	v_add_f32_e32 v19, v35, v19                                // 00000000465C: 02262723
	v_add_f32_e32 v19, v36, v19                                // 000000004660: 02262724
	v_add_f32_e32 v19, v37, v19                                // 000000004664: 02262725
	;; [unrolled: 1-line block ×3, first 2 shown]
	v_add_f32_e32 v19, v39, v19                                // 00000000466C: 02262727
	v_mfma_f32_32x32x16_bf16 v[64:79], v[232:235], v[184:187], v[64:79]// 000000004670: D3B70040 050371E8
	v_add_f32_e32 v19, v40, v19                                // 000000004678: 02262728
	v_add_f32_e32 v19, v41, v19                                // 00000000467C: 02262729
	v_add_f32_e32 v19, v42, v19                                // 000000004680: 0226272A
	v_add_f32_e32 v19, v43, v19                                // 000000004684: 0226272B
	v_add_f32_e32 v19, v44, v19                                // 000000004688: 0226272C
	v_add_f32_e32 v19, v45, v19                                // 00000000468C: 0226272D
	v_mfma_f32_32x32x16_bf16 v[64:79], v[236:239], v[188:191], v[64:79]// 000000004690: D3B70040 050379EC
	v_add_f32_e32 v19, v46, v19                                // 000000004698: 0226272E
	v_add_f32_e32 v19, v47, v19                                // 00000000469C: 0226272F
	v_add_f32_e32 v19, v48, v19                                // 0000000046A0: 02262730
	v_add_f32_e32 v19, v49, v19                                // 0000000046A4: 02262731
	v_add_f32_e32 v19, v50, v19                                // 0000000046A8: 02262732
	v_add_f32_e32 v19, v51, v19                                // 0000000046AC: 02262733
	v_mfma_f32_32x32x16_bf16 v[80:95], v[208:211], v[160:163], 0// 0000000046B0: D3B70050 020341D0
	v_add_f32_e32 v19, v52, v19                                // 0000000046B8: 02262734
	v_add_f32_e32 v19, v53, v19                                // 0000000046BC: 02262735
	v_add_f32_e32 v19, v54, v19                                // 0000000046C0: 02262736
	v_add_f32_e32 v19, v55, v19                                // 0000000046C4: 02262737
	v_add_f32_e32 v19, v56, v19                                // 0000000046C8: 02262738
	v_add_f32_e32 v19, v57, v19                                // 0000000046CC: 02262739
	v_mfma_f32_32x32x16_bf16 v[80:95], v[212:215], v[164:167], v[80:95]// 0000000046D0: D3B70050 054349D4
	v_add_f32_e32 v19, v58, v19                                // 0000000046D8: 0226273A
	v_add_f32_e32 v19, v59, v19                                // 0000000046DC: 0226273B
	v_add_f32_e32 v19, v60, v19                                // 0000000046E0: 0226273C
	v_add_f32_e32 v19, v61, v19                                // 0000000046E4: 0226273D
	v_add_f32_e32 v19, v62, v19                                // 0000000046E8: 0226273E
	v_add_f32_e32 v19, v63, v19                                // 0000000046EC: 0226273F
	v_mfma_f32_32x32x16_bf16 v[80:95], v[216:219], v[168:171], v[80:95]// 0000000046F0: D3B70050 054351D8
	v_mov_b32_e32 v20, v19                                     // 0000000046F8: 7E280313
	v_mul_f32_e32 v96, v16, v96                                // 0000000046FC: 0AC0C110
	v_mul_f32_e32 v97, v16, v97                                // 000000004700: 0AC2C310
	v_permlane32_swap_b32_e32 v20, v19                         // 000000004704: 7E28B513
	v_add_f32_e32 v20, v20, v19                                // 000000004708: 02282714
	v_mfma_f32_32x32x16_bf16 v[80:95], v[220:223], v[172:175], v[80:95]// 00000000470C: D3B70050 054359DC
	v_add_f32_e32 v18, v20, v18                                // 000000004714: 02242514
	v_mul_f32_e32 v98, v16, v98                                // 000000004718: 0AC4C510
	v_mul_f32_e32 v99, v16, v99                                // 00000000471C: 0AC6C710
	v_mul_f32_e32 v100, v16, v100                              // 000000004720: 0AC8C910
	v_mul_f32_e32 v101, v16, v101                              // 000000004724: 0ACACB10
	v_mul_f32_e32 v102, v16, v102                              // 000000004728: 0ACCCD10
	v_mfma_f32_32x32x16_bf16 v[80:95], v[240:243], v[176:179], v[80:95]// 00000000472C: D3B70050 054361F0
	v_mul_f32_e32 v103, v16, v103                              // 000000004734: 0ACECF10
	v_mul_f32_e32 v104, v16, v104                              // 000000004738: 0AD0D110
	v_mul_f32_e32 v105, v16, v105                              // 00000000473C: 0AD2D310
	v_mul_f32_e32 v106, v16, v106                              // 000000004740: 0AD4D510
	v_mul_f32_e32 v107, v16, v107                              // 000000004744: 0AD6D710
	v_mul_f32_e32 v108, v16, v108                              // 000000004748: 0AD8D910
	v_mfma_f32_32x32x16_bf16 v[80:95], v[244:247], v[180:183], v[80:95]// 00000000474C: D3B70050 054369F4
	v_mul_f32_e32 v109, v16, v109                              // 000000004754: 0ADADB10
	v_cvt_pk_bf16_f32 v32, v32, v33                            // 000000004758: D2680020 00024320
	v_cvt_pk_bf16_f32 v33, v34, v35                            // 000000004760: D2680021 00024722
	v_cvt_pk_bf16_f32 v34, v36, v37                            // 000000004768: D2680022 00024B24
	v_cvt_pk_bf16_f32 v35, v38, v39                            // 000000004770: D2680023 00024F26
	v_cvt_pk_bf16_f32 v36, v40, v41                            // 000000004778: D2680024 00025328
	v_mfma_f32_32x32x16_bf16 v[80:95], v[248:251], v[184:187], v[80:95]// 000000004780: D3B70050 054371F8
	v_cvt_pk_bf16_f32 v37, v42, v43                            // 000000004788: D2680025 0002572A
	v_cvt_pk_bf16_f32 v38, v44, v45                            // 000000004790: D2680026 00025B2C
	v_cvt_pk_bf16_f32 v39, v46, v47                            // 000000004798: D2680027 00025F2E
	v_cvt_pk_bf16_f32 v40, v48, v49                            // 0000000047A0: D2680028 00026330
	v_cvt_pk_bf16_f32 v41, v50, v51                            // 0000000047A8: D2680029 00026732
	v_cvt_pk_bf16_f32 v42, v52, v53                            // 0000000047B0: D268002A 00026B34
	v_mfma_f32_32x32x16_bf16 v[80:95], v[252:255], v[188:191], v[80:95]// 0000000047B8: D3B70050 054379FC
	v_cvt_pk_bf16_f32 v43, v54, v55                            // 0000000047C0: D268002B 00026F36
	v_cvt_pk_bf16_f32 v44, v56, v57                            // 0000000047C8: D268002C 00027338
	v_cvt_pk_bf16_f32 v45, v58, v59                            // 0000000047D0: D268002D 0002773A
	v_cvt_pk_bf16_f32 v46, v60, v61                            // 0000000047D8: D268002E 00027B3C
	v_cvt_pk_bf16_f32 v47, v62, v63                            // 0000000047E0: D268002F 00027F3E
	s_waitcnt vmcnt(4)                                         // 0000000047E8: BF8C0F74
	s_barrier                                                  // 0000000047EC: BF8A0000
	s_mov_b32 m0, s65                                          // 0000000047F0: BEFC0041
	buffer_load_dwordx4 v4, s[12:15], s34 offen lds            // 0000000047F4: E05D1000 22030004
	s_add_u32 m0, 0x2080, m0                                   // 0000000047FC: 807C7CFF 00002080
	buffer_load_dwordx4 v5, s[12:15], s34 offen lds            // 000000004804: E05D1000 22030005
	s_add_u32 m0, 0x2080, m0                                   // 00000000480C: 807C7CFF 00002080
	s_add_i32 s34, s43, s34                                    // 000000004814: 8122222B
	s_nop 0                                                    // 000000004818: BF800000
	s_add_u32 s40, 0x100, s39                                  // 00000000481C: 802827FF 00000100
	s_nop 0                                                    // 000000004824: BF800000
	s_cmp_lt_u32 s40, s38                                      // 000000004828: BF0A2628
	s_cselect_b32 s43, s43, 0                                  // 00000000482C: 852B802B
	ds_read_b64_tr_b16 v[192:193], v10                         // 000000004830: D9C60000 C000000A
	ds_read_b64_tr_b16 v[194:195], v10 offset:512              // 000000004838: D9C60200 C200000A
	ds_read_b64_tr_b16 v[208:209], v10 offset:64               // 000000004840: D9C60040 D000000A
	ds_read_b64_tr_b16 v[210:211], v10 offset:576              // 000000004848: D9C60240 D200000A
	ds_read_b64_tr_b16 v[196:197], v10 offset:2176             // 000000004850: D9C60880 C400000A
	ds_read_b64_tr_b16 v[198:199], v10 offset:2688             // 000000004858: D9C60A80 C600000A
	ds_read_b64_tr_b16 v[212:213], v10 offset:2240             // 000000004860: D9C608C0 D400000A
	ds_read_b64_tr_b16 v[214:215], v10 offset:2752             // 000000004868: D9C60AC0 D600000A
	ds_read_b64_tr_b16 v[200:201], v10 offset:4352             // 000000004870: D9C61100 C800000A
	ds_read_b64_tr_b16 v[202:203], v10 offset:4864             // 000000004878: D9C61300 CA00000A
	ds_read_b64_tr_b16 v[216:217], v10 offset:4416             // 000000004880: D9C61140 D800000A
	ds_read_b64_tr_b16 v[218:219], v10 offset:4928             // 000000004888: D9C61340 DA00000A
	ds_read_b64_tr_b16 v[204:205], v10 offset:6528             // 000000004890: D9C61980 CC00000A
	ds_read_b64_tr_b16 v[206:207], v10 offset:7040             // 000000004898: D9C61B80 CE00000A
	ds_read_b64_tr_b16 v[220:221], v10 offset:6592             // 0000000048A0: D9C619C0 DC00000A
	ds_read_b64_tr_b16 v[222:223], v10 offset:7104             // 0000000048A8: D9C61BC0 DE00000A
	ds_read_b64_tr_b16 v[224:225], v10 offset:8704             // 0000000048B0: D9C62200 E000000A
	ds_read_b64_tr_b16 v[226:227], v10 offset:9216             // 0000000048B8: D9C62400 E200000A
	ds_read_b64_tr_b16 v[240:241], v10 offset:8768             // 0000000048C0: D9C62240 F000000A
	ds_read_b64_tr_b16 v[242:243], v10 offset:9280             // 0000000048C8: D9C62440 F200000A
	ds_read_b64_tr_b16 v[228:229], v10 offset:10880            // 0000000048D0: D9C62A80 E400000A
	ds_read_b64_tr_b16 v[230:231], v10 offset:11392            // 0000000048D8: D9C62C80 E600000A
	ds_read_b64_tr_b16 v[244:245], v10 offset:10944            // 0000000048E0: D9C62AC0 F400000A
	ds_read_b64_tr_b16 v[246:247], v10 offset:11456            // 0000000048E8: D9C62CC0 F600000A
	ds_read_b64_tr_b16 v[232:233], v10 offset:13056            // 0000000048F0: D9C63300 E800000A
	ds_read_b64_tr_b16 v[234:235], v10 offset:13568            // 0000000048F8: D9C63500 EA00000A
	ds_read_b64_tr_b16 v[248:249], v10 offset:13120            // 000000004900: D9C63340 F800000A
	ds_read_b64_tr_b16 v[250:251], v10 offset:13632            // 000000004908: D9C63540 FA00000A
	ds_read_b64_tr_b16 v[236:237], v10 offset:15232            // 000000004910: D9C63B80 EC00000A
	ds_read_b64_tr_b16 v[238:239], v10 offset:15744            // 000000004918: D9C63D80 EE00000A
	ds_read_b64_tr_b16 v[252:253], v10 offset:15296            // 000000004920: D9C63BC0 FC00000A
	ds_read_b64_tr_b16 v[254:255], v10 offset:15808            // 000000004928: D9C63DC0 FE00000A
	s_nop 0                                                    // 000000004930: BF800000
	s_cmp_lt_i32 s52, s51                                      // 000000004934: BF043334
	s_cbranch_scc1 label_069B                                  // 000000004938: BF85010C
	s_sub_i32 s40, s51, s52                                    // 00000000493C: 81A83433
	s_sub_i32 s41, s7, s30                                     // 000000004940: 81A91E07
	s_and_b32 s41, s41, 63                                     // 000000004944: 8629BF29
	s_add_i32 s40, s40, s41                                    // 000000004948: 81282928
	v_add_i32 v12, v25, s40                                    // 00000000494C: D29C000C 00005119
	s_nop 0                                                    // 000000004954: BF800000
	v_cmp_lt_i32_e64 s[68:69], v12, 0                          // 000000004958: D0C10044 0001010C
	v_cmp_lt_i32_e64 s[70:71], v12, 1                          // 000000004960: D0C10046 0001030C
	v_cndmask_b32_e64 v64, v64, v27, s[68:69]                  // 000000004968: D1000040 01123740
	v_cndmask_b32_e64 v65, v65, v27, s[70:71]                  // 000000004970: D1000041 011A3741
	v_cmp_lt_i32_e64 s[68:69], v12, 2                          // 000000004978: D0C10044 0001050C
	v_cmp_lt_i32_e64 s[70:71], v12, 3                          // 000000004980: D0C10046 0001070C
	v_cndmask_b32_e64 v66, v66, v27, s[68:69]                  // 000000004988: D1000042 01123742
	v_cndmask_b32_e64 v67, v67, v27, s[70:71]                  // 000000004990: D1000043 011A3743
	v_cmp_lt_i32_e64 s[68:69], v12, 8                          // 000000004998: D0C10044 0001110C
	v_cmp_lt_i32_e64 s[70:71], v12, 9                          // 0000000049A0: D0C10046 0001130C
	v_cndmask_b32_e64 v68, v68, v27, s[68:69]                  // 0000000049A8: D1000044 01123744
	v_cndmask_b32_e64 v69, v69, v27, s[70:71]                  // 0000000049B0: D1000045 011A3745
	v_cmp_lt_i32_e64 s[68:69], v12, 10                         // 0000000049B8: D0C10044 0001150C
	v_cmp_lt_i32_e64 s[70:71], v12, 11                         // 0000000049C0: D0C10046 0001170C
	v_cndmask_b32_e64 v70, v70, v27, s[68:69]                  // 0000000049C8: D1000046 01123746
	v_cndmask_b32_e64 v71, v71, v27, s[70:71]                  // 0000000049D0: D1000047 011A3747
	v_cmp_lt_i32_e64 s[68:69], v12, 16                         // 0000000049D8: D0C10044 0001210C
	v_cmp_lt_i32_e64 s[70:71], v12, 17                         // 0000000049E0: D0C10046 0001230C
	v_cndmask_b32_e64 v72, v72, v27, s[68:69]                  // 0000000049E8: D1000048 01123748
	v_cndmask_b32_e64 v73, v73, v27, s[70:71]                  // 0000000049F0: D1000049 011A3749
	v_cmp_lt_i32_e64 s[68:69], v12, 18                         // 0000000049F8: D0C10044 0001250C
	v_cmp_lt_i32_e64 s[70:71], v12, 19                         // 000000004A00: D0C10046 0001270C
	v_cndmask_b32_e64 v74, v74, v27, s[68:69]                  // 000000004A08: D100004A 0112374A
	v_cndmask_b32_e64 v75, v75, v27, s[70:71]                  // 000000004A10: D100004B 011A374B
	v_cmp_lt_i32_e64 s[68:69], v12, 24                         // 000000004A18: D0C10044 0001310C
	v_cmp_lt_i32_e64 s[70:71], v12, 25                         // 000000004A20: D0C10046 0001330C
	v_cndmask_b32_e64 v76, v76, v27, s[68:69]                  // 000000004A28: D100004C 0112374C
	v_cndmask_b32_e64 v77, v77, v27, s[70:71]                  // 000000004A30: D100004D 011A374D
	v_cmp_lt_i32_e64 s[68:69], v12, 26                         // 000000004A38: D0C10044 0001350C
	v_cmp_lt_i32_e64 s[70:71], v12, 27                         // 000000004A40: D0C10046 0001370C
	v_cndmask_b32_e64 v78, v78, v27, s[68:69]                  // 000000004A48: D100004E 0112374E
	v_cndmask_b32_e64 v79, v79, v27, s[70:71]                  // 000000004A50: D100004F 011A374F
	v_cmp_lt_i32_e64 s[68:69], v12, 32                         // 000000004A58: D0C10044 0001410C
	v_cmp_lt_i32_e64 s[70:71], v12, 33                         // 000000004A60: D0C10046 0001430C
	v_cndmask_b32_e64 v80, v80, v27, s[68:69]                  // 000000004A68: D1000050 01123750
	v_cndmask_b32_e64 v81, v81, v27, s[70:71]                  // 000000004A70: D1000051 011A3751
	v_cmp_lt_i32_e64 s[68:69], v12, 34                         // 000000004A78: D0C10044 0001450C
	v_cmp_lt_i32_e64 s[70:71], v12, 35                         // 000000004A80: D0C10046 0001470C
	v_cndmask_b32_e64 v82, v82, v27, s[68:69]                  // 000000004A88: D1000052 01123752
	v_cndmask_b32_e64 v83, v83, v27, s[70:71]                  // 000000004A90: D1000053 011A3753
	v_cmp_lt_i32_e64 s[68:69], v12, 40                         // 000000004A98: D0C10044 0001510C
	v_cmp_lt_i32_e64 s[70:71], v12, 41                         // 000000004AA0: D0C10046 0001530C
	v_cndmask_b32_e64 v84, v84, v27, s[68:69]                  // 000000004AA8: D1000054 01123754
	v_cndmask_b32_e64 v85, v85, v27, s[70:71]                  // 000000004AB0: D1000055 011A3755
	v_cmp_lt_i32_e64 s[68:69], v12, 42                         // 000000004AB8: D0C10044 0001550C
	v_cmp_lt_i32_e64 s[70:71], v12, 43                         // 000000004AC0: D0C10046 0001570C
	v_cndmask_b32_e64 v86, v86, v27, s[68:69]                  // 000000004AC8: D1000056 01123756
	v_cndmask_b32_e64 v87, v87, v27, s[70:71]                  // 000000004AD0: D1000057 011A3757
	v_cmp_lt_i32_e64 s[68:69], v12, 48                         // 000000004AD8: D0C10044 0001610C
	v_cmp_lt_i32_e64 s[70:71], v12, 49                         // 000000004AE0: D0C10046 0001630C
	v_cndmask_b32_e64 v88, v88, v27, s[68:69]                  // 000000004AE8: D1000058 01123758
	v_cndmask_b32_e64 v89, v89, v27, s[70:71]                  // 000000004AF0: D1000059 011A3759
	v_cmp_lt_i32_e64 s[68:69], v12, 50                         // 000000004AF8: D0C10044 0001650C
	v_cmp_lt_i32_e64 s[70:71], v12, 51                         // 000000004B00: D0C10046 0001670C
	v_cndmask_b32_e64 v90, v90, v27, s[68:69]                  // 000000004B08: D100005A 0112375A
	v_cndmask_b32_e64 v91, v91, v27, s[70:71]                  // 000000004B10: D100005B 011A375B
	v_cmp_lt_i32_e64 s[68:69], v12, 56                         // 000000004B18: D0C10044 0001710C
	v_cmp_lt_i32_e64 s[70:71], v12, 57                         // 000000004B20: D0C10046 0001730C
	v_cndmask_b32_e64 v92, v92, v27, s[68:69]                  // 000000004B28: D100005C 0112375C
	v_cndmask_b32_e64 v93, v93, v27, s[70:71]                  // 000000004B30: D100005D 011A375D
	v_cmp_lt_i32_e64 s[68:69], v12, 58                         // 000000004B38: D0C10044 0001750C
	v_cmp_lt_i32_e64 s[70:71], v12, 59                         // 000000004B40: D0C10046 0001770C
	v_cndmask_b32_e64 v94, v94, v27, s[68:69]                  // 000000004B48: D100005E 0112375E
	v_cndmask_b32_e64 v95, v95, v27, s[70:71]                  // 000000004B50: D100005F 011A375F
	s_cmp_lt_i32 s52, s54                                      // 000000004B58: BF043634
	s_cbranch_scc1 label_069B                                  // 000000004B5C: BF850083
	s_sub_i32 s40, s7, s52                                     // 000000004B60: 81A83407
	v_sub_i32 v12, s40, v26                                    // 000000004B64: D29D000C 00023428
	v_cmp_lt_i32_e64 s[68:69], 0, v12                          // 000000004B6C: D0C10044 00021880
	v_cmp_lt_i32_e64 s[70:71], 1, v12                          // 000000004B74: D0C10046 00021881
	v_cndmask_b32_e64 v64, v27, v64, s[68:69]                  // 000000004B7C: D1000040 0112811B
	v_cndmask_b32_e64 v65, v27, v65, s[70:71]                  // 000000004B84: D1000041 011A831B
	v_cmp_lt_i32_e64 s[68:69], 2, v12                          // 000000004B8C: D0C10044 00021882
	v_cmp_lt_i32_e64 s[70:71], 3, v12                          // 000000004B94: D0C10046 00021883
	v_cndmask_b32_e64 v66, v27, v66, s[68:69]                  // 000000004B9C: D1000042 0112851B
	v_cndmask_b32_e64 v67, v27, v67, s[70:71]                  // 000000004BA4: D1000043 011A871B
	v_cmp_lt_i32_e64 s[68:69], 8, v12                          // 000000004BAC: D0C10044 00021888
	v_cmp_lt_i32_e64 s[70:71], 9, v12                          // 000000004BB4: D0C10046 00021889
	v_cndmask_b32_e64 v68, v27, v68, s[68:69]                  // 000000004BBC: D1000044 0112891B
	v_cndmask_b32_e64 v69, v27, v69, s[70:71]                  // 000000004BC4: D1000045 011A8B1B
	v_cmp_lt_i32_e64 s[68:69], 10, v12                         // 000000004BCC: D0C10044 0002188A
	v_cmp_lt_i32_e64 s[70:71], 11, v12                         // 000000004BD4: D0C10046 0002188B
	v_cndmask_b32_e64 v70, v27, v70, s[68:69]                  // 000000004BDC: D1000046 01128D1B
	v_cndmask_b32_e64 v71, v27, v71, s[70:71]                  // 000000004BE4: D1000047 011A8F1B
	v_cmp_lt_i32_e64 s[68:69], 16, v12                         // 000000004BEC: D0C10044 00021890
	v_cmp_lt_i32_e64 s[70:71], 17, v12                         // 000000004BF4: D0C10046 00021891
	v_cndmask_b32_e64 v72, v27, v72, s[68:69]                  // 000000004BFC: D1000048 0112911B
	v_cndmask_b32_e64 v73, v27, v73, s[70:71]                  // 000000004C04: D1000049 011A931B
	v_cmp_lt_i32_e64 s[68:69], 18, v12                         // 000000004C0C: D0C10044 00021892
	v_cmp_lt_i32_e64 s[70:71], 19, v12                         // 000000004C14: D0C10046 00021893
	v_cndmask_b32_e64 v74, v27, v74, s[68:69]                  // 000000004C1C: D100004A 0112951B
	v_cndmask_b32_e64 v75, v27, v75, s[70:71]                  // 000000004C24: D100004B 011A971B
	v_cmp_lt_i32_e64 s[68:69], 24, v12                         // 000000004C2C: D0C10044 00021898
	v_cmp_lt_i32_e64 s[70:71], 25, v12                         // 000000004C34: D0C10046 00021899
	v_cndmask_b32_e64 v76, v27, v76, s[68:69]                  // 000000004C3C: D100004C 0112991B
	v_cndmask_b32_e64 v77, v27, v77, s[70:71]                  // 000000004C44: D100004D 011A9B1B
	v_cmp_lt_i32_e64 s[68:69], 26, v12                         // 000000004C4C: D0C10044 0002189A
	v_cmp_lt_i32_e64 s[70:71], 27, v12                         // 000000004C54: D0C10046 0002189B
	v_cndmask_b32_e64 v78, v27, v78, s[68:69]                  // 000000004C5C: D100004E 01129D1B
	v_cndmask_b32_e64 v79, v27, v79, s[70:71]                  // 000000004C64: D100004F 011A9F1B
	v_cmp_lt_i32_e64 s[68:69], 32, v12                         // 000000004C6C: D0C10044 000218A0
	v_cmp_lt_i32_e64 s[70:71], 33, v12                         // 000000004C74: D0C10046 000218A1
	v_cndmask_b32_e64 v80, v27, v80, s[68:69]                  // 000000004C7C: D1000050 0112A11B
	v_cndmask_b32_e64 v81, v27, v81, s[70:71]                  // 000000004C84: D1000051 011AA31B
	v_cmp_lt_i32_e64 s[68:69], 34, v12                         // 000000004C8C: D0C10044 000218A2
	v_cmp_lt_i32_e64 s[70:71], 35, v12                         // 000000004C94: D0C10046 000218A3
	v_cndmask_b32_e64 v82, v27, v82, s[68:69]                  // 000000004C9C: D1000052 0112A51B
	v_cndmask_b32_e64 v83, v27, v83, s[70:71]                  // 000000004CA4: D1000053 011AA71B
	v_cmp_lt_i32_e64 s[68:69], 40, v12                         // 000000004CAC: D0C10044 000218A8
	v_cmp_lt_i32_e64 s[70:71], 41, v12                         // 000000004CB4: D0C10046 000218A9
	v_cndmask_b32_e64 v84, v27, v84, s[68:69]                  // 000000004CBC: D1000054 0112A91B
	v_cndmask_b32_e64 v85, v27, v85, s[70:71]                  // 000000004CC4: D1000055 011AAB1B
	v_cmp_lt_i32_e64 s[68:69], 42, v12                         // 000000004CCC: D0C10044 000218AA
	v_cmp_lt_i32_e64 s[70:71], 43, v12                         // 000000004CD4: D0C10046 000218AB
	v_cndmask_b32_e64 v86, v27, v86, s[68:69]                  // 000000004CDC: D1000056 0112AD1B
	v_cndmask_b32_e64 v87, v27, v87, s[70:71]                  // 000000004CE4: D1000057 011AAF1B
	v_cmp_lt_i32_e64 s[68:69], 48, v12                         // 000000004CEC: D0C10044 000218B0
	v_cmp_lt_i32_e64 s[70:71], 49, v12                         // 000000004CF4: D0C10046 000218B1
	v_cndmask_b32_e64 v88, v27, v88, s[68:69]                  // 000000004CFC: D1000058 0112B11B
	v_cndmask_b32_e64 v89, v27, v89, s[70:71]                  // 000000004D04: D1000059 011AB31B
	v_cmp_lt_i32_e64 s[68:69], 50, v12                         // 000000004D0C: D0C10044 000218B2
	v_cmp_lt_i32_e64 s[70:71], 51, v12                         // 000000004D14: D0C10046 000218B3
	v_cndmask_b32_e64 v90, v27, v90, s[68:69]                  // 000000004D1C: D100005A 0112B51B
	v_cndmask_b32_e64 v91, v27, v91, s[70:71]                  // 000000004D24: D100005B 011AB71B
	v_cmp_lt_i32_e64 s[68:69], 56, v12                         // 000000004D2C: D0C10044 000218B8
	v_cmp_lt_i32_e64 s[70:71], 57, v12                         // 000000004D34: D0C10046 000218B9
	v_cndmask_b32_e64 v92, v27, v92, s[68:69]                  // 000000004D3C: D100005C 0112B91B
	v_cndmask_b32_e64 v93, v27, v93, s[70:71]                  // 000000004D44: D100005D 011ABB1B
	v_cmp_lt_i32_e64 s[68:69], 58, v12                         // 000000004D4C: D0C10044 000218BA
	v_cmp_lt_i32_e64 s[70:71], 59, v12                         // 000000004D54: D0C10046 000218BB
	v_cndmask_b32_e64 v94, v27, v94, s[68:69]                  // 000000004D5C: D100005E 0112BD1B
	v_cndmask_b32_e64 v95, v27, v95, s[70:71]                  // 000000004D64: D100005F 011ABF1B

0000000000004d6c <label_069B>:
	s_waitcnt lgkmcnt(0)                                       // 000000004D6C: BF8CC07F
	s_barrier                                                  // 000000004D70: BF8A0000
	v_mfma_f32_32x32x16_bf16 v[96:111], v[192:195], v[32:35], v[96:111]// 000000004D74: D3B70060 058241C0
	v_mov_b32_e32 v21, v24                                     // 000000004D7C: 7E2A0318
	v_max3_f32 v21, v64, v65, v21                              // 000000004D80: D1D30015 04568340
	v_max3_f32 v21, v66, v67, v21                              // 000000004D88: D1D30015 04568742
	v_max3_f32 v21, v68, v69, v21                              // 000000004D90: D1D30015 04568B44
	v_max3_f32 v21, v70, v71, v21                              // 000000004D98: D1D30015 04568F46
	v_max3_f32 v21, v72, v73, v21                              // 000000004DA0: D1D30015 04569348
	v_mfma_f32_32x32x16_bf16 v[96:111], v[196:199], v[36:39], v[96:111]// 000000004DA8: D3B70060 058249C4
	v_max3_f32 v21, v74, v75, v21                              // 000000004DB0: D1D30015 0456974A
	v_max3_f32 v21, v76, v77, v21                              // 000000004DB8: D1D30015 04569B4C
	v_max3_f32 v21, v78, v79, v21                              // 000000004DC0: D1D30015 04569F4E
	v_max3_f32 v21, v80, v81, v21                              // 000000004DC8: D1D30015 0456A350
	v_max3_f32 v21, v82, v83, v21                              // 000000004DD0: D1D30015 0456A752
	v_max3_f32 v21, v84, v85, v21                              // 000000004DD8: D1D30015 0456AB54
	v_mfma_f32_32x32x16_bf16 v[96:111], v[200:203], v[40:43], v[96:111]// 000000004DE0: D3B70060 058251C8
	v_max3_f32 v21, v86, v87, v21                              // 000000004DE8: D1D30015 0456AF56
	v_max3_f32 v21, v88, v89, v21                              // 000000004DF0: D1D30015 0456B358
	v_max3_f32 v21, v90, v91, v21                              // 000000004DF8: D1D30015 0456B75A
	v_max3_f32 v21, v92, v93, v21                              // 000000004E00: D1D30015 0456BB5C
	v_max3_f32 v21, v94, v95, v21                              // 000000004E08: D1D30015 0456BF5E
	v_mov_b32_e32 v20, v21                                     // 000000004E10: 7E280315
	v_mfma_f32_32x32x16_bf16 v[96:111], v[204:207], v[44:47], v[96:111]// 000000004E14: D3B70060 058259CC
	v_nop                                                      // 000000004E1C: 7E000000
	v_nop                                                      // 000000004E20: 7E000000
	v_permlane32_swap_b32_e32 v20, v21                         // 000000004E24: 7E28B515
	v_max_f32_e32 v21, v20, v21                                // 000000004E28: 162A2B14
	v_sub_f32_e32 v16, v24, v21                                // 000000004E2C: 04202B18
	v_mfma_f32_32x32x16_bf16 v[112:127], v[208:211], v[32:35], v[112:127]// 000000004E30: D3B70070 05C241D0
	v_mov_b32_e32 v24, v21                                     // 000000004E38: 7E300315
	v_mul_f32_e32 v23, s37, v21                                // 000000004E3C: 0A2E2A25
	v_mul_f32_e32 v16, s37, v16                                // 000000004E40: 0A202025
	v_exp_f32_e32 v16, v16                                     // 000000004E44: 7E204110
	v_fma_f32 v64, v64, s37, -v23                              // 000000004E48: D1CB0040 845C4B40
	v_mfma_f32_32x32x16_bf16 v[112:127], v[212:215], v[36:39], v[112:127]// 000000004E50: D3B70070 05C249D4
	v_fma_f32 v65, v65, s37, -v23                              // 000000004E58: D1CB0041 845C4B41
	v_fma_f32 v66, v66, s37, -v23                              // 000000004E60: D1CB0042 845C4B42
	v_fma_f32 v67, v67, s37, -v23                              // 000000004E68: D1CB0043 845C4B43
	v_fma_f32 v68, v68, s37, -v23                              // 000000004E70: D1CB0044 845C4B44
	v_fma_f32 v69, v69, s37, -v23                              // 000000004E78: D1CB0045 845C4B45
	v_fma_f32 v70, v70, s37, -v23                              // 000000004E80: D1CB0046 845C4B46
	v_mfma_f32_32x32x16_bf16 v[112:127], v[216:219], v[40:43], v[112:127]// 000000004E88: D3B70070 05C251D8
	v_fma_f32 v71, v71, s37, -v23                              // 000000004E90: D1CB0047 845C4B47
	v_fma_f32 v72, v72, s37, -v23                              // 000000004E98: D1CB0048 845C4B48
	v_fma_f32 v73, v73, s37, -v23                              // 000000004EA0: D1CB0049 845C4B49
	v_fma_f32 v74, v74, s37, -v23                              // 000000004EA8: D1CB004A 845C4B4A
	v_fma_f32 v75, v75, s37, -v23                              // 000000004EB0: D1CB004B 845C4B4B
	v_fma_f32 v76, v76, s37, -v23                              // 000000004EB8: D1CB004C 845C4B4C
	v_mfma_f32_32x32x16_bf16 v[112:127], v[220:223], v[44:47], v[112:127]// 000000004EC0: D3B70070 05C259DC
	v_fma_f32 v77, v77, s37, -v23                              // 000000004EC8: D1CB004D 845C4B4D
	v_fma_f32 v78, v78, s37, -v23                              // 000000004ED0: D1CB004E 845C4B4E
	v_fma_f32 v79, v79, s37, -v23                              // 000000004ED8: D1CB004F 845C4B4F
	v_fma_f32 v80, v80, s37, -v23                              // 000000004EE0: D1CB0050 845C4B50
	v_fma_f32 v81, v81, s37, -v23                              // 000000004EE8: D1CB0051 845C4B51
	v_fma_f32 v82, v82, s37, -v23                              // 000000004EF0: D1CB0052 845C4B52
	v_mfma_f32_32x32x16_bf16 v[128:143], v[224:227], v[32:35], v[128:143]// 000000004EF8: D3B70080 060241E0
	v_fma_f32 v83, v83, s37, -v23                              // 000000004F00: D1CB0053 845C4B53
	v_fma_f32 v84, v84, s37, -v23                              // 000000004F08: D1CB0054 845C4B54
	v_fma_f32 v85, v85, s37, -v23                              // 000000004F10: D1CB0055 845C4B55
	v_fma_f32 v86, v86, s37, -v23                              // 000000004F18: D1CB0056 845C4B56
	v_fma_f32 v87, v87, s37, -v23                              // 000000004F20: D1CB0057 845C4B57
	v_fma_f32 v88, v88, s37, -v23                              // 000000004F28: D1CB0058 845C4B58
	v_mfma_f32_32x32x16_bf16 v[128:143], v[228:231], v[36:39], v[128:143]// 000000004F30: D3B70080 060249E4
	v_fma_f32 v89, v89, s37, -v23                              // 000000004F38: D1CB0059 845C4B59
	v_fma_f32 v90, v90, s37, -v23                              // 000000004F40: D1CB005A 845C4B5A
	v_fma_f32 v91, v91, s37, -v23                              // 000000004F48: D1CB005B 845C4B5B
	v_fma_f32 v92, v92, s37, -v23                              // 000000004F50: D1CB005C 845C4B5C
	v_fma_f32 v93, v93, s37, -v23                              // 000000004F58: D1CB005D 845C4B5D
	v_fma_f32 v94, v94, s37, -v23                              // 000000004F60: D1CB005E 845C4B5E
	v_mfma_f32_32x32x16_bf16 v[128:143], v[232:235], v[40:43], v[128:143]// 000000004F68: D3B70080 060251E8
	v_fma_f32 v95, v95, s37, -v23                              // 000000004F70: D1CB005F 845C4B5F
	v_exp_f32_e32 v64, v64                                     // 000000004F78: 7E804140
	v_exp_f32_e32 v65, v65                                     // 000000004F7C: 7E824141
	v_exp_f32_e32 v66, v66                                     // 000000004F80: 7E844142
	v_mfma_f32_32x32x16_bf16 v[128:143], v[236:239], v[44:47], v[128:143]// 000000004F84: D3B70080 060259EC
	v_exp_f32_e32 v67, v67                                     // 000000004F8C: 7E864143
	v_exp_f32_e32 v68, v68                                     // 000000004F90: 7E884144
	v_exp_f32_e32 v69, v69                                     // 000000004F94: 7E8A4145
	v_mfma_f32_32x32x16_bf16 v[144:159], v[240:243], v[32:35], v[144:159]// 000000004F98: D3B70090 064241F0
	v_exp_f32_e32 v70, v70                                     // 000000004FA0: 7E8C4146
	v_exp_f32_e32 v71, v71                                     // 000000004FA4: 7E8E4147
	v_exp_f32_e32 v72, v72                                     // 000000004FA8: 7E904148
	v_mfma_f32_32x32x16_bf16 v[144:159], v[244:247], v[36:39], v[144:159]// 000000004FAC: D3B70090 064249F4
	v_exp_f32_e32 v73, v73                                     // 000000004FB4: 7E924149
	v_exp_f32_e32 v74, v74                                     // 000000004FB8: 7E94414A
	v_exp_f32_e32 v75, v75                                     // 000000004FBC: 7E96414B
	v_mfma_f32_32x32x16_bf16 v[144:159], v[248:251], v[40:43], v[144:159]// 000000004FC0: D3B70090 064251F8
	v_exp_f32_e32 v76, v76                                     // 000000004FC8: 7E98414C
	v_exp_f32_e32 v77, v77                                     // 000000004FCC: 7E9A414D
	v_exp_f32_e32 v78, v78                                     // 000000004FD0: 7E9C414E
	v_mfma_f32_32x32x16_bf16 v[144:159], v[252:255], v[44:47], v[144:159]// 000000004FD4: D3B70090 064259FC
	v_exp_f32_e32 v79, v79                                     // 000000004FDC: 7E9E414F
	v_exp_f32_e32 v80, v80                                     // 000000004FE0: 7EA04150
	v_exp_f32_e32 v81, v81                                     // 000000004FE4: 7EA24151
	s_nop 0                                                    // 000000004FE8: BF800000
	v_mov_b32_e32 v17, v16                                     // 000000004FEC: 7E220310
	v_mul_f32_e32 v110, v16, v110                              // 000000004FF0: 0ADCDD10
	v_mul_f32_e32 v111, v16, v111                              // 000000004FF4: 0ADEDF10
	v_pk_mul_f32 v[112:113], v[16:17], v[112:113]              // 000000004FF8: D3B14070 1802E110
	v_pk_mul_f32 v[114:115], v[16:17], v[114:115]              // 000000005000: D3B14072 1802E510
	v_pk_mul_f32 v[116:117], v[16:17], v[116:117]              // 000000005008: D3B14074 1802E910
	v_pk_mul_f32 v[118:119], v[16:17], v[118:119]              // 000000005010: D3B14076 1802ED10
	v_pk_mul_f32 v[120:121], v[16:17], v[120:121]              // 000000005018: D3B14078 1802F110
	v_pk_mul_f32 v[122:123], v[16:17], v[122:123]              // 000000005020: D3B1407A 1802F510
	v_pk_mul_f32 v[124:125], v[16:17], v[124:125]              // 000000005028: D3B1407C 1802F910
	v_pk_mul_f32 v[126:127], v[16:17], v[126:127]              // 000000005030: D3B1407E 1802FD10
	v_pk_mul_f32 v[128:129], v[16:17], v[128:129]              // 000000005038: D3B14080 18030110
	v_pk_mul_f32 v[130:131], v[16:17], v[130:131]              // 000000005040: D3B14082 18030510
	v_pk_mul_f32 v[132:133], v[16:17], v[132:133]              // 000000005048: D3B14084 18030910
	v_pk_mul_f32 v[134:135], v[16:17], v[134:135]              // 000000005050: D3B14086 18030D10
	v_pk_mul_f32 v[136:137], v[16:17], v[136:137]              // 000000005058: D3B14088 18031110
	v_pk_mul_f32 v[138:139], v[16:17], v[138:139]              // 000000005060: D3B1408A 18031510
	v_pk_mul_f32 v[140:141], v[16:17], v[140:141]              // 000000005068: D3B1408C 18031910
	v_pk_mul_f32 v[142:143], v[16:17], v[142:143]              // 000000005070: D3B1408E 18031D10
	v_pk_mul_f32 v[144:145], v[16:17], v[144:145]              // 000000005078: D3B14090 18032110
	v_pk_mul_f32 v[146:147], v[16:17], v[146:147]              // 000000005080: D3B14092 18032510
	v_pk_mul_f32 v[148:149], v[16:17], v[148:149]              // 000000005088: D3B14094 18032910
	v_pk_mul_f32 v[150:151], v[16:17], v[150:151]              // 000000005090: D3B14096 18032D10
	v_pk_mul_f32 v[152:153], v[16:17], v[152:153]              // 000000005098: D3B14098 18033110
	v_pk_mul_f32 v[154:155], v[16:17], v[154:155]              // 0000000050A0: D3B1409A 18033510
	v_pk_mul_f32 v[156:157], v[16:17], v[156:157]              // 0000000050A8: D3B1409C 18033910
	v_pk_mul_f32 v[158:159], v[16:17], v[158:159]              // 0000000050B0: D3B1409E 18033D10
	s_waitcnt vmcnt(4)                                         // 0000000050B8: BF8C0F74
	s_barrier                                                  // 0000000050BC: BF8A0000
	s_nop 15                                                   // 0000000050C0: BF80000F
	s_nop 7                                                    // 0000000050C4: BF800007
	s_mov_b32 m0, s66                                          // 0000000050C8: BEFC0042
	buffer_load_dwordx4 v6, s[16:19], s35 offen lds            // 0000000050CC: E05D1000 23040006
	s_add_u32 m0, 0x2200, m0                                   // 0000000050D4: 807C7CFF 00002200
	buffer_load_dwordx4 v7, s[16:19], s35 offen lds            // 0000000050DC: E05D1000 23040007
	s_add_u32 m0, 0x2200, m0                                   // 0000000050E4: 807C7CFF 00002200
	s_add_i32 s35, s44, s35                                    // 0000000050EC: 8123232C
	s_nop 0                                                    // 0000000050F0: BF800000
	s_add_u32 s40, 0xc0, s39                                   // 0000000050F4: 802827FF 000000C0
	s_nop 0                                                    // 0000000050FC: BF800000
	s_cmp_lt_u32 s40, s38                                      // 000000005100: BF0A2628
	s_cselect_b32 s44, s44, 0                                  // 000000005104: 852C802C
	s_nop 15                                                   // 000000005108: BF80000F
	s_nop 15                                                   // 00000000510C: BF80000F
	s_nop 7                                                    // 000000005110: BF800007
	ds_read_b128 v[192:195], v8                                // 000000005114: D9FE0000 C0000008
	ds_read_b128 v[208:211], v8 offset:512                     // 00000000511C: D9FE0200 D0000008
	ds_read_b128 v[196:199], v8 offset:32                      // 000000005124: D9FE0020 C4000008
	ds_read_b128 v[212:215], v8 offset:544                     // 00000000512C: D9FE0220 D4000008
	ds_read_b128 v[200:203], v8 offset:64                      // 000000005134: D9FE0040 C8000008
	ds_read_b128 v[216:219], v8 offset:576                     // 00000000513C: D9FE0240 D8000008
	ds_read_b128 v[204:207], v8 offset:96                      // 000000005144: D9FE0060 CC000008
	ds_read_b128 v[220:223], v8 offset:608                     // 00000000514C: D9FE0260 DC000008
	ds_read_b128 v[224:227], v8 offset:8320                    // 000000005154: D9FE2080 E0000008
	ds_read_b128 v[240:243], v8 offset:8832                    // 00000000515C: D9FE2280 F0000008
	ds_read_b128 v[228:231], v8 offset:8352                    // 000000005164: D9FE20A0 E4000008
	ds_read_b128 v[244:247], v8 offset:8864                    // 00000000516C: D9FE22A0 F4000008
	ds_read_b128 v[232:235], v8 offset:8384                    // 000000005174: D9FE20C0 E8000008
	ds_read_b128 v[248:251], v8 offset:8896                    // 00000000517C: D9FE22C0 F8000008
	ds_read_b128 v[236:239], v8 offset:8416                    // 000000005184: D9FE20E0 EC000008
	ds_read_b128 v[252:255], v8 offset:8928                    // 00000000518C: D9FE22E0 FC000008
	s_add_i32 s52, s52, s53                                    // 000000005194: 81343534
	s_addk_i32 s39, 0x40                                       // 000000005198: B7270040
	s_cmp_lt_i32 s39, s38                                      // 00000000519C: BF042627
	s_cbranch_scc0 label_1076                                  // 0000000051A0: BF8408CD
	s_waitcnt lgkmcnt(0)                                       // 0000000051A4: BF8CC07F
	v_nop                                                      // 0000000051A8: 7E000000
	v_mfma_f32_32x32x16_bf16 v[32:47], v[192:195], v[160:163], 0// 0000000051AC: D3B70020 020341C0
	v_exp_f32_e32 v82, v82                                     // 0000000051B4: 7EA44152
	v_exp_f32_e32 v83, v83                                     // 0000000051B8: 7EA64153
	v_exp_f32_e32 v84, v84                                     // 0000000051BC: 7EA84154
	v_mfma_f32_32x32x16_bf16 v[32:47], v[196:199], v[164:167], v[32:47]// 0000000051C0: D3B70020 048349C4
	v_exp_f32_e32 v85, v85                                     // 0000000051C8: 7EAA4155
	v_exp_f32_e32 v86, v86                                     // 0000000051CC: 7EAC4156
	v_exp_f32_e32 v87, v87                                     // 0000000051D0: 7EAE4157
	v_mfma_f32_32x32x16_bf16 v[32:47], v[200:203], v[168:171], v[32:47]// 0000000051D4: D3B70020 048351C8
	v_exp_f32_e32 v88, v88                                     // 0000000051DC: 7EB04158
	v_exp_f32_e32 v89, v89                                     // 0000000051E0: 7EB24159
	v_exp_f32_e32 v90, v90                                     // 0000000051E4: 7EB4415A
	v_mfma_f32_32x32x16_bf16 v[32:47], v[204:207], v[172:175], v[32:47]// 0000000051E8: D3B70020 048359CC
	v_exp_f32_e32 v91, v91                                     // 0000000051F0: 7EB6415B
	v_exp_f32_e32 v92, v92                                     // 0000000051F4: 7EB8415C
	v_exp_f32_e32 v93, v93                                     // 0000000051F8: 7EBA415D
	v_mfma_f32_32x32x16_bf16 v[32:47], v[224:227], v[176:179], v[32:47]// 0000000051FC: D3B70020 048361E0
	v_exp_f32_e32 v94, v94                                     // 000000005204: 7EBC415E
	v_exp_f32_e32 v95, v95                                     // 000000005208: 7EBE415F
	v_mul_f32_e32 v18, v16, v18                                // 00000000520C: 0A242510
	v_add_f32_e32 v19, v65, v64                                // 000000005210: 02268141
	v_mfma_f32_32x32x16_bf16 v[32:47], v[228:231], v[180:183], v[32:47]// 000000005214: D3B70020 048369E4
	v_add_f32_e32 v19, v66, v19                                // 00000000521C: 02262742
	v_add_f32_e32 v19, v67, v19                                // 000000005220: 02262743
	v_add_f32_e32 v19, v68, v19                                // 000000005224: 02262744
	;; [unrolled: 1-line block ×3, first 2 shown]
	v_add_f32_e32 v19, v70, v19                                // 00000000522C: 02262746
	v_add_f32_e32 v19, v71, v19                                // 000000005230: 02262747
	v_mfma_f32_32x32x16_bf16 v[32:47], v[232:235], v[184:187], v[32:47]// 000000005234: D3B70020 048371E8
	v_add_f32_e32 v19, v72, v19                                // 00000000523C: 02262748
	v_add_f32_e32 v19, v73, v19                                // 000000005240: 02262749
	v_add_f32_e32 v19, v74, v19                                // 000000005244: 0226274A
	v_add_f32_e32 v19, v75, v19                                // 000000005248: 0226274B
	v_add_f32_e32 v19, v76, v19                                // 00000000524C: 0226274C
	v_add_f32_e32 v19, v77, v19                                // 000000005250: 0226274D
	v_mfma_f32_32x32x16_bf16 v[32:47], v[236:239], v[188:191], v[32:47]// 000000005254: D3B70020 048379EC
	v_add_f32_e32 v19, v78, v19                                // 00000000525C: 0226274E
	v_add_f32_e32 v19, v79, v19                                // 000000005260: 0226274F
	v_add_f32_e32 v19, v80, v19                                // 000000005264: 02262750
	v_add_f32_e32 v19, v81, v19                                // 000000005268: 02262751
	v_add_f32_e32 v19, v82, v19                                // 00000000526C: 02262752
	v_add_f32_e32 v19, v83, v19                                // 000000005270: 02262753
	v_mfma_f32_32x32x16_bf16 v[48:63], v[208:211], v[160:163], 0// 000000005274: D3B70030 020341D0
	v_add_f32_e32 v19, v84, v19                                // 00000000527C: 02262754
	v_add_f32_e32 v19, v85, v19                                // 000000005280: 02262755
	v_add_f32_e32 v19, v86, v19                                // 000000005284: 02262756
	;; [unrolled: 1-line block ×3, first 2 shown]
	v_add_f32_e32 v19, v88, v19                                // 00000000528C: 02262758
	v_add_f32_e32 v19, v89, v19                                // 000000005290: 02262759
	v_mfma_f32_32x32x16_bf16 v[48:63], v[212:215], v[164:167], v[48:63]// 000000005294: D3B70030 04C349D4
	v_add_f32_e32 v19, v90, v19                                // 00000000529C: 0226275A
	v_add_f32_e32 v19, v91, v19                                // 0000000052A0: 0226275B
	v_add_f32_e32 v19, v92, v19                                // 0000000052A4: 0226275C
	v_add_f32_e32 v19, v93, v19                                // 0000000052A8: 0226275D
	v_add_f32_e32 v19, v94, v19                                // 0000000052AC: 0226275E
	v_add_f32_e32 v19, v95, v19                                // 0000000052B0: 0226275F
	v_mfma_f32_32x32x16_bf16 v[48:63], v[216:219], v[168:171], v[48:63]// 0000000052B4: D3B70030 04C351D8
	v_mov_b32_e32 v20, v19                                     // 0000000052BC: 7E280313
	v_mul_f32_e32 v96, v16, v96                                // 0000000052C0: 0AC0C110
	v_mul_f32_e32 v97, v16, v97                                // 0000000052C4: 0AC2C310
	v_permlane32_swap_b32_e32 v20, v19                         // 0000000052C8: 7E28B513
	v_add_f32_e32 v20, v20, v19                                // 0000000052CC: 02282714
	v_mfma_f32_32x32x16_bf16 v[48:63], v[220:223], v[172:175], v[48:63]// 0000000052D0: D3B70030 04C359DC
	v_add_f32_e32 v18, v20, v18                                // 0000000052D8: 02242514
	v_mul_f32_e32 v98, v16, v98                                // 0000000052DC: 0AC4C510
	v_mul_f32_e32 v99, v16, v99                                // 0000000052E0: 0AC6C710
	v_mul_f32_e32 v100, v16, v100                              // 0000000052E4: 0AC8C910
	v_mul_f32_e32 v101, v16, v101                              // 0000000052E8: 0ACACB10
	v_mul_f32_e32 v102, v16, v102                              // 0000000052EC: 0ACCCD10
	v_mfma_f32_32x32x16_bf16 v[48:63], v[240:243], v[176:179], v[48:63]// 0000000052F0: D3B70030 04C361F0
	v_mul_f32_e32 v103, v16, v103                              // 0000000052F8: 0ACECF10
	v_mul_f32_e32 v104, v16, v104                              // 0000000052FC: 0AD0D110
	v_mul_f32_e32 v105, v16, v105                              // 000000005300: 0AD2D310
	v_mul_f32_e32 v106, v16, v106                              // 000000005304: 0AD4D510
	v_mul_f32_e32 v107, v16, v107                              // 000000005308: 0AD6D710
	v_mul_f32_e32 v108, v16, v108                              // 00000000530C: 0AD8D910
	v_mfma_f32_32x32x16_bf16 v[48:63], v[244:247], v[180:183], v[48:63]// 000000005310: D3B70030 04C369F4
	v_mul_f32_e32 v109, v16, v109                              // 000000005318: 0ADADB10
	v_cvt_pk_bf16_f32 v64, v64, v65                            // 00000000531C: D2680040 00028340
	v_cvt_pk_bf16_f32 v65, v66, v67                            // 000000005324: D2680041 00028742
	v_cvt_pk_bf16_f32 v66, v68, v69                            // 00000000532C: D2680042 00028B44
	v_cvt_pk_bf16_f32 v67, v70, v71                            // 000000005334: D2680043 00028F46
	v_cvt_pk_bf16_f32 v68, v72, v73                            // 00000000533C: D2680044 00029348
	v_mfma_f32_32x32x16_bf16 v[48:63], v[248:251], v[184:187], v[48:63]// 000000005344: D3B70030 04C371F8
	v_cvt_pk_bf16_f32 v69, v74, v75                            // 00000000534C: D2680045 0002974A
	v_cvt_pk_bf16_f32 v70, v76, v77                            // 000000005354: D2680046 00029B4C
	v_cvt_pk_bf16_f32 v71, v78, v79                            // 00000000535C: D2680047 00029F4E
	v_cvt_pk_bf16_f32 v72, v80, v81                            // 000000005364: D2680048 0002A350
	v_cvt_pk_bf16_f32 v73, v82, v83                            // 00000000536C: D2680049 0002A752
	v_cvt_pk_bf16_f32 v74, v84, v85                            // 000000005374: D268004A 0002AB54
	v_mfma_f32_32x32x16_bf16 v[48:63], v[252:255], v[188:191], v[48:63]// 00000000537C: D3B70030 04C379FC
	v_cvt_pk_bf16_f32 v75, v86, v87                            // 000000005384: D268004B 0002AF56
	v_cvt_pk_bf16_f32 v76, v88, v89                            // 00000000538C: D268004C 0002B358
	v_cvt_pk_bf16_f32 v77, v90, v91                            // 000000005394: D268004D 0002B75A
	v_cvt_pk_bf16_f32 v78, v92, v93                            // 00000000539C: D268004E 0002BB5C
	v_cvt_pk_bf16_f32 v79, v94, v95                            // 0000000053A4: D268004F 0002BF5E
	s_waitcnt vmcnt(4)                                         // 0000000053AC: BF8C0F74
	s_barrier                                                  // 0000000053B0: BF8A0000
	s_mov_b32 m0, s64                                          // 0000000053B4: BEFC0040
	buffer_load_dwordx4 v4, s[12:15], s34 offen lds            // 0000000053B8: E05D1000 22030004
	s_add_u32 m0, 0x2080, m0                                   // 0000000053C0: 807C7CFF 00002080
	buffer_load_dwordx4 v5, s[12:15], s34 offen lds            // 0000000053C8: E05D1000 22030005
	s_add_u32 m0, 0x2080, m0                                   // 0000000053D0: 807C7CFF 00002080
	s_add_i32 s34, s43, s34                                    // 0000000053D8: 8122222B
	s_nop 0                                                    // 0000000053DC: BF800000
	s_add_u32 s40, 0x100, s39                                  // 0000000053E0: 802827FF 00000100
	s_nop 0                                                    // 0000000053E8: BF800000
	s_cmp_lt_u32 s40, s38                                      // 0000000053EC: BF0A2628
	s_cselect_b32 s43, s43, 0                                  // 0000000053F0: 852B802B
	ds_read_b64_tr_b16 v[192:193], v11                         // 0000000053F4: D9C60000 C000000B
	ds_read_b64_tr_b16 v[194:195], v11 offset:512              // 0000000053FC: D9C60200 C200000B
	ds_read_b64_tr_b16 v[208:209], v11 offset:64               // 000000005404: D9C60040 D000000B
	ds_read_b64_tr_b16 v[210:211], v11 offset:576              // 00000000540C: D9C60240 D200000B
	ds_read_b64_tr_b16 v[196:197], v11 offset:2176             // 000000005414: D9C60880 C400000B
	ds_read_b64_tr_b16 v[198:199], v11 offset:2688             // 00000000541C: D9C60A80 C600000B
	ds_read_b64_tr_b16 v[212:213], v11 offset:2240             // 000000005424: D9C608C0 D400000B
	ds_read_b64_tr_b16 v[214:215], v11 offset:2752             // 00000000542C: D9C60AC0 D600000B
	ds_read_b64_tr_b16 v[200:201], v11 offset:4352             // 000000005434: D9C61100 C800000B
	ds_read_b64_tr_b16 v[202:203], v11 offset:4864             // 00000000543C: D9C61300 CA00000B
	ds_read_b64_tr_b16 v[216:217], v11 offset:4416             // 000000005444: D9C61140 D800000B
	ds_read_b64_tr_b16 v[218:219], v11 offset:4928             // 00000000544C: D9C61340 DA00000B
	ds_read_b64_tr_b16 v[204:205], v11 offset:6528             // 000000005454: D9C61980 CC00000B
	ds_read_b64_tr_b16 v[206:207], v11 offset:7040             // 00000000545C: D9C61B80 CE00000B
	ds_read_b64_tr_b16 v[220:221], v11 offset:6592             // 000000005464: D9C619C0 DC00000B
	ds_read_b64_tr_b16 v[222:223], v11 offset:7104             // 00000000546C: D9C61BC0 DE00000B
	ds_read_b64_tr_b16 v[224:225], v11 offset:8704             // 000000005474: D9C62200 E000000B
	ds_read_b64_tr_b16 v[226:227], v11 offset:9216             // 00000000547C: D9C62400 E200000B
	ds_read_b64_tr_b16 v[240:241], v11 offset:8768             // 000000005484: D9C62240 F000000B
	ds_read_b64_tr_b16 v[242:243], v11 offset:9280             // 00000000548C: D9C62440 F200000B
	ds_read_b64_tr_b16 v[228:229], v11 offset:10880            // 000000005494: D9C62A80 E400000B
	ds_read_b64_tr_b16 v[230:231], v11 offset:11392            // 00000000549C: D9C62C80 E600000B
	ds_read_b64_tr_b16 v[244:245], v11 offset:10944            // 0000000054A4: D9C62AC0 F400000B
	ds_read_b64_tr_b16 v[246:247], v11 offset:11456            // 0000000054AC: D9C62CC0 F600000B
	ds_read_b64_tr_b16 v[232:233], v11 offset:13056            // 0000000054B4: D9C63300 E800000B
	ds_read_b64_tr_b16 v[234:235], v11 offset:13568            // 0000000054BC: D9C63500 EA00000B
	ds_read_b64_tr_b16 v[248:249], v11 offset:13120            // 0000000054C4: D9C63340 F800000B
	ds_read_b64_tr_b16 v[250:251], v11 offset:13632            // 0000000054CC: D9C63540 FA00000B
	ds_read_b64_tr_b16 v[236:237], v11 offset:15232            // 0000000054D4: D9C63B80 EC00000B
	ds_read_b64_tr_b16 v[238:239], v11 offset:15744            // 0000000054DC: D9C63D80 EE00000B
	ds_read_b64_tr_b16 v[252:253], v11 offset:15296            // 0000000054E4: D9C63BC0 FC00000B
	ds_read_b64_tr_b16 v[254:255], v11 offset:15808            // 0000000054EC: D9C63DC0 FE00000B
	s_cmp_lt_i32 s52, s51                                      // 0000000054F4: BF043334
	s_cbranch_scc1 label_098B                                  // 0000000054F8: BF85010C
	s_sub_i32 s40, s51, s52                                    // 0000000054FC: 81A83433
	s_sub_i32 s41, s7, s30                                     // 000000005500: 81A91E07
	s_and_b32 s41, s41, 63                                     // 000000005504: 8629BF29
	s_add_i32 s40, s40, s41                                    // 000000005508: 81282928
	v_add_i32 v12, v25, s40                                    // 00000000550C: D29C000C 00005119
	s_nop 0                                                    // 000000005514: BF800000
	v_cmp_lt_i32_e64 s[68:69], v12, 0                          // 000000005518: D0C10044 0001010C
	v_cmp_lt_i32_e64 s[70:71], v12, 1                          // 000000005520: D0C10046 0001030C
	v_cndmask_b32_e64 v32, v32, v27, s[68:69]                  // 000000005528: D1000020 01123720
	v_cndmask_b32_e64 v33, v33, v27, s[70:71]                  // 000000005530: D1000021 011A3721
	v_cmp_lt_i32_e64 s[68:69], v12, 2                          // 000000005538: D0C10044 0001050C
	v_cmp_lt_i32_e64 s[70:71], v12, 3                          // 000000005540: D0C10046 0001070C
	v_cndmask_b32_e64 v34, v34, v27, s[68:69]                  // 000000005548: D1000022 01123722
	v_cndmask_b32_e64 v35, v35, v27, s[70:71]                  // 000000005550: D1000023 011A3723
	v_cmp_lt_i32_e64 s[68:69], v12, 8                          // 000000005558: D0C10044 0001110C
	v_cmp_lt_i32_e64 s[70:71], v12, 9                          // 000000005560: D0C10046 0001130C
	v_cndmask_b32_e64 v36, v36, v27, s[68:69]                  // 000000005568: D1000024 01123724
	v_cndmask_b32_e64 v37, v37, v27, s[70:71]                  // 000000005570: D1000025 011A3725
	v_cmp_lt_i32_e64 s[68:69], v12, 10                         // 000000005578: D0C10044 0001150C
	v_cmp_lt_i32_e64 s[70:71], v12, 11                         // 000000005580: D0C10046 0001170C
	v_cndmask_b32_e64 v38, v38, v27, s[68:69]                  // 000000005588: D1000026 01123726
	v_cndmask_b32_e64 v39, v39, v27, s[70:71]                  // 000000005590: D1000027 011A3727
	v_cmp_lt_i32_e64 s[68:69], v12, 16                         // 000000005598: D0C10044 0001210C
	v_cmp_lt_i32_e64 s[70:71], v12, 17                         // 0000000055A0: D0C10046 0001230C
	v_cndmask_b32_e64 v40, v40, v27, s[68:69]                  // 0000000055A8: D1000028 01123728
	v_cndmask_b32_e64 v41, v41, v27, s[70:71]                  // 0000000055B0: D1000029 011A3729
	v_cmp_lt_i32_e64 s[68:69], v12, 18                         // 0000000055B8: D0C10044 0001250C
	v_cmp_lt_i32_e64 s[70:71], v12, 19                         // 0000000055C0: D0C10046 0001270C
	v_cndmask_b32_e64 v42, v42, v27, s[68:69]                  // 0000000055C8: D100002A 0112372A
	v_cndmask_b32_e64 v43, v43, v27, s[70:71]                  // 0000000055D0: D100002B 011A372B
	v_cmp_lt_i32_e64 s[68:69], v12, 24                         // 0000000055D8: D0C10044 0001310C
	v_cmp_lt_i32_e64 s[70:71], v12, 25                         // 0000000055E0: D0C10046 0001330C
	v_cndmask_b32_e64 v44, v44, v27, s[68:69]                  // 0000000055E8: D100002C 0112372C
	v_cndmask_b32_e64 v45, v45, v27, s[70:71]                  // 0000000055F0: D100002D 011A372D
	v_cmp_lt_i32_e64 s[68:69], v12, 26                         // 0000000055F8: D0C10044 0001350C
	v_cmp_lt_i32_e64 s[70:71], v12, 27                         // 000000005600: D0C10046 0001370C
	v_cndmask_b32_e64 v46, v46, v27, s[68:69]                  // 000000005608: D100002E 0112372E
	v_cndmask_b32_e64 v47, v47, v27, s[70:71]                  // 000000005610: D100002F 011A372F
	v_cmp_lt_i32_e64 s[68:69], v12, 32                         // 000000005618: D0C10044 0001410C
	v_cmp_lt_i32_e64 s[70:71], v12, 33                         // 000000005620: D0C10046 0001430C
	v_cndmask_b32_e64 v48, v48, v27, s[68:69]                  // 000000005628: D1000030 01123730
	v_cndmask_b32_e64 v49, v49, v27, s[70:71]                  // 000000005630: D1000031 011A3731
	v_cmp_lt_i32_e64 s[68:69], v12, 34                         // 000000005638: D0C10044 0001450C
	v_cmp_lt_i32_e64 s[70:71], v12, 35                         // 000000005640: D0C10046 0001470C
	v_cndmask_b32_e64 v50, v50, v27, s[68:69]                  // 000000005648: D1000032 01123732
	v_cndmask_b32_e64 v51, v51, v27, s[70:71]                  // 000000005650: D1000033 011A3733
	v_cmp_lt_i32_e64 s[68:69], v12, 40                         // 000000005658: D0C10044 0001510C
	v_cmp_lt_i32_e64 s[70:71], v12, 41                         // 000000005660: D0C10046 0001530C
	v_cndmask_b32_e64 v52, v52, v27, s[68:69]                  // 000000005668: D1000034 01123734
	v_cndmask_b32_e64 v53, v53, v27, s[70:71]                  // 000000005670: D1000035 011A3735
	v_cmp_lt_i32_e64 s[68:69], v12, 42                         // 000000005678: D0C10044 0001550C
	v_cmp_lt_i32_e64 s[70:71], v12, 43                         // 000000005680: D0C10046 0001570C
	v_cndmask_b32_e64 v54, v54, v27, s[68:69]                  // 000000005688: D1000036 01123736
	v_cndmask_b32_e64 v55, v55, v27, s[70:71]                  // 000000005690: D1000037 011A3737
	v_cmp_lt_i32_e64 s[68:69], v12, 48                         // 000000005698: D0C10044 0001610C
	v_cmp_lt_i32_e64 s[70:71], v12, 49                         // 0000000056A0: D0C10046 0001630C
	v_cndmask_b32_e64 v56, v56, v27, s[68:69]                  // 0000000056A8: D1000038 01123738
	v_cndmask_b32_e64 v57, v57, v27, s[70:71]                  // 0000000056B0: D1000039 011A3739
	v_cmp_lt_i32_e64 s[68:69], v12, 50                         // 0000000056B8: D0C10044 0001650C
	v_cmp_lt_i32_e64 s[70:71], v12, 51                         // 0000000056C0: D0C10046 0001670C
	v_cndmask_b32_e64 v58, v58, v27, s[68:69]                  // 0000000056C8: D100003A 0112373A
	v_cndmask_b32_e64 v59, v59, v27, s[70:71]                  // 0000000056D0: D100003B 011A373B
	v_cmp_lt_i32_e64 s[68:69], v12, 56                         // 0000000056D8: D0C10044 0001710C
	v_cmp_lt_i32_e64 s[70:71], v12, 57                         // 0000000056E0: D0C10046 0001730C
	v_cndmask_b32_e64 v60, v60, v27, s[68:69]                  // 0000000056E8: D100003C 0112373C
	v_cndmask_b32_e64 v61, v61, v27, s[70:71]                  // 0000000056F0: D100003D 011A373D
	v_cmp_lt_i32_e64 s[68:69], v12, 58                         // 0000000056F8: D0C10044 0001750C
	v_cmp_lt_i32_e64 s[70:71], v12, 59                         // 000000005700: D0C10046 0001770C
	v_cndmask_b32_e64 v62, v62, v27, s[68:69]                  // 000000005708: D100003E 0112373E
	v_cndmask_b32_e64 v63, v63, v27, s[70:71]                  // 000000005710: D100003F 011A373F
	s_cmp_lt_i32 s52, s54                                      // 000000005718: BF043634
	s_cbranch_scc1 label_098B                                  // 00000000571C: BF850083
	s_sub_i32 s40, s7, s52                                     // 000000005720: 81A83407
	v_sub_i32 v12, s40, v26                                    // 000000005724: D29D000C 00023428
	v_cmp_lt_i32_e64 s[68:69], 0, v12                          // 00000000572C: D0C10044 00021880
	v_cmp_lt_i32_e64 s[70:71], 1, v12                          // 000000005734: D0C10046 00021881
	v_cndmask_b32_e64 v32, v27, v32, s[68:69]                  // 00000000573C: D1000020 0112411B
	v_cndmask_b32_e64 v33, v27, v33, s[70:71]                  // 000000005744: D1000021 011A431B
	v_cmp_lt_i32_e64 s[68:69], 2, v12                          // 00000000574C: D0C10044 00021882
	v_cmp_lt_i32_e64 s[70:71], 3, v12                          // 000000005754: D0C10046 00021883
	v_cndmask_b32_e64 v34, v27, v34, s[68:69]                  // 00000000575C: D1000022 0112451B
	v_cndmask_b32_e64 v35, v27, v35, s[70:71]                  // 000000005764: D1000023 011A471B
	v_cmp_lt_i32_e64 s[68:69], 8, v12                          // 00000000576C: D0C10044 00021888
	v_cmp_lt_i32_e64 s[70:71], 9, v12                          // 000000005774: D0C10046 00021889
	v_cndmask_b32_e64 v36, v27, v36, s[68:69]                  // 00000000577C: D1000024 0112491B
	v_cndmask_b32_e64 v37, v27, v37, s[70:71]                  // 000000005784: D1000025 011A4B1B
	v_cmp_lt_i32_e64 s[68:69], 10, v12                         // 00000000578C: D0C10044 0002188A
	v_cmp_lt_i32_e64 s[70:71], 11, v12                         // 000000005794: D0C10046 0002188B
	v_cndmask_b32_e64 v38, v27, v38, s[68:69]                  // 00000000579C: D1000026 01124D1B
	v_cndmask_b32_e64 v39, v27, v39, s[70:71]                  // 0000000057A4: D1000027 011A4F1B
	v_cmp_lt_i32_e64 s[68:69], 16, v12                         // 0000000057AC: D0C10044 00021890
	v_cmp_lt_i32_e64 s[70:71], 17, v12                         // 0000000057B4: D0C10046 00021891
	v_cndmask_b32_e64 v40, v27, v40, s[68:69]                  // 0000000057BC: D1000028 0112511B
	v_cndmask_b32_e64 v41, v27, v41, s[70:71]                  // 0000000057C4: D1000029 011A531B
	v_cmp_lt_i32_e64 s[68:69], 18, v12                         // 0000000057CC: D0C10044 00021892
	v_cmp_lt_i32_e64 s[70:71], 19, v12                         // 0000000057D4: D0C10046 00021893
	v_cndmask_b32_e64 v42, v27, v42, s[68:69]                  // 0000000057DC: D100002A 0112551B
	v_cndmask_b32_e64 v43, v27, v43, s[70:71]                  // 0000000057E4: D100002B 011A571B
	v_cmp_lt_i32_e64 s[68:69], 24, v12                         // 0000000057EC: D0C10044 00021898
	v_cmp_lt_i32_e64 s[70:71], 25, v12                         // 0000000057F4: D0C10046 00021899
	v_cndmask_b32_e64 v44, v27, v44, s[68:69]                  // 0000000057FC: D100002C 0112591B
	v_cndmask_b32_e64 v45, v27, v45, s[70:71]                  // 000000005804: D100002D 011A5B1B
	v_cmp_lt_i32_e64 s[68:69], 26, v12                         // 00000000580C: D0C10044 0002189A
	v_cmp_lt_i32_e64 s[70:71], 27, v12                         // 000000005814: D0C10046 0002189B
	v_cndmask_b32_e64 v46, v27, v46, s[68:69]                  // 00000000581C: D100002E 01125D1B
	v_cndmask_b32_e64 v47, v27, v47, s[70:71]                  // 000000005824: D100002F 011A5F1B
	v_cmp_lt_i32_e64 s[68:69], 32, v12                         // 00000000582C: D0C10044 000218A0
	v_cmp_lt_i32_e64 s[70:71], 33, v12                         // 000000005834: D0C10046 000218A1
	v_cndmask_b32_e64 v48, v27, v48, s[68:69]                  // 00000000583C: D1000030 0112611B
	v_cndmask_b32_e64 v49, v27, v49, s[70:71]                  // 000000005844: D1000031 011A631B
	v_cmp_lt_i32_e64 s[68:69], 34, v12                         // 00000000584C: D0C10044 000218A2
	v_cmp_lt_i32_e64 s[70:71], 35, v12                         // 000000005854: D0C10046 000218A3
	v_cndmask_b32_e64 v50, v27, v50, s[68:69]                  // 00000000585C: D1000032 0112651B
	v_cndmask_b32_e64 v51, v27, v51, s[70:71]                  // 000000005864: D1000033 011A671B
	v_cmp_lt_i32_e64 s[68:69], 40, v12                         // 00000000586C: D0C10044 000218A8
	v_cmp_lt_i32_e64 s[70:71], 41, v12                         // 000000005874: D0C10046 000218A9
	v_cndmask_b32_e64 v52, v27, v52, s[68:69]                  // 00000000587C: D1000034 0112691B
	v_cndmask_b32_e64 v53, v27, v53, s[70:71]                  // 000000005884: D1000035 011A6B1B
	v_cmp_lt_i32_e64 s[68:69], 42, v12                         // 00000000588C: D0C10044 000218AA
	v_cmp_lt_i32_e64 s[70:71], 43, v12                         // 000000005894: D0C10046 000218AB
	v_cndmask_b32_e64 v54, v27, v54, s[68:69]                  // 00000000589C: D1000036 01126D1B
	v_cndmask_b32_e64 v55, v27, v55, s[70:71]                  // 0000000058A4: D1000037 011A6F1B
	v_cmp_lt_i32_e64 s[68:69], 48, v12                         // 0000000058AC: D0C10044 000218B0
	v_cmp_lt_i32_e64 s[70:71], 49, v12                         // 0000000058B4: D0C10046 000218B1
	v_cndmask_b32_e64 v56, v27, v56, s[68:69]                  // 0000000058BC: D1000038 0112711B
	v_cndmask_b32_e64 v57, v27, v57, s[70:71]                  // 0000000058C4: D1000039 011A731B
	v_cmp_lt_i32_e64 s[68:69], 50, v12                         // 0000000058CC: D0C10044 000218B2
	v_cmp_lt_i32_e64 s[70:71], 51, v12                         // 0000000058D4: D0C10046 000218B3
	v_cndmask_b32_e64 v58, v27, v58, s[68:69]                  // 0000000058DC: D100003A 0112751B
	v_cndmask_b32_e64 v59, v27, v59, s[70:71]                  // 0000000058E4: D100003B 011A771B
	v_cmp_lt_i32_e64 s[68:69], 56, v12                         // 0000000058EC: D0C10044 000218B8
	v_cmp_lt_i32_e64 s[70:71], 57, v12                         // 0000000058F4: D0C10046 000218B9
	v_cndmask_b32_e64 v60, v27, v60, s[68:69]                  // 0000000058FC: D100003C 0112791B
	v_cndmask_b32_e64 v61, v27, v61, s[70:71]                  // 000000005904: D100003D 011A7B1B
	v_cmp_lt_i32_e64 s[68:69], 58, v12                         // 00000000590C: D0C10044 000218BA
	v_cmp_lt_i32_e64 s[70:71], 59, v12                         // 000000005914: D0C10046 000218BB
	v_cndmask_b32_e64 v62, v27, v62, s[68:69]                  // 00000000591C: D100003E 01127D1B
	v_cndmask_b32_e64 v63, v27, v63, s[70:71]                  // 000000005924: D100003F 011A7F1B

000000000000592c <label_098B>:
	s_waitcnt lgkmcnt(0)                                       // 00000000592C: BF8CC07F
	s_barrier                                                  // 000000005930: BF8A0000
	v_mfma_f32_32x32x16_bf16 v[96:111], v[192:195], v[64:67], v[96:111]// 000000005934: D3B70060 058281C0
	v_mov_b32_e32 v21, v24                                     // 00000000593C: 7E2A0318
	v_max3_f32 v21, v32, v33, v21                              // 000000005940: D1D30015 04564320
	v_max3_f32 v21, v34, v35, v21                              // 000000005948: D1D30015 04564722
	v_max3_f32 v21, v36, v37, v21                              // 000000005950: D1D30015 04564B24
	v_max3_f32 v21, v38, v39, v21                              // 000000005958: D1D30015 04564F26
	v_max3_f32 v21, v40, v41, v21                              // 000000005960: D1D30015 04565328
	v_mfma_f32_32x32x16_bf16 v[96:111], v[196:199], v[68:71], v[96:111]// 000000005968: D3B70060 058289C4
	v_max3_f32 v21, v42, v43, v21                              // 000000005970: D1D30015 0456572A
	v_max3_f32 v21, v44, v45, v21                              // 000000005978: D1D30015 04565B2C
	v_max3_f32 v21, v46, v47, v21                              // 000000005980: D1D30015 04565F2E
	v_max3_f32 v21, v48, v49, v21                              // 000000005988: D1D30015 04566330
	v_max3_f32 v21, v50, v51, v21                              // 000000005990: D1D30015 04566732
	v_max3_f32 v21, v52, v53, v21                              // 000000005998: D1D30015 04566B34
	v_mfma_f32_32x32x16_bf16 v[96:111], v[200:203], v[72:75], v[96:111]// 0000000059A0: D3B70060 058291C8
	v_max3_f32 v21, v54, v55, v21                              // 0000000059A8: D1D30015 04566F36
	v_max3_f32 v21, v56, v57, v21                              // 0000000059B0: D1D30015 04567338
	v_max3_f32 v21, v58, v59, v21                              // 0000000059B8: D1D30015 0456773A
	v_max3_f32 v21, v60, v61, v21                              // 0000000059C0: D1D30015 04567B3C
	v_max3_f32 v21, v62, v63, v21                              // 0000000059C8: D1D30015 04567F3E
	v_mov_b32_e32 v20, v21                                     // 0000000059D0: 7E280315
	v_mfma_f32_32x32x16_bf16 v[96:111], v[204:207], v[76:79], v[96:111]// 0000000059D4: D3B70060 058299CC
	v_nop                                                      // 0000000059DC: 7E000000
	v_nop                                                      // 0000000059E0: 7E000000
	v_permlane32_swap_b32_e32 v20, v21                         // 0000000059E4: 7E28B515
	v_max_f32_e32 v21, v20, v21                                // 0000000059E8: 162A2B14
	v_sub_f32_e32 v16, v24, v21                                // 0000000059EC: 04202B18
	v_mfma_f32_32x32x16_bf16 v[112:127], v[208:211], v[64:67], v[112:127]// 0000000059F0: D3B70070 05C281D0
	v_mov_b32_e32 v24, v21                                     // 0000000059F8: 7E300315
	v_mul_f32_e32 v23, s37, v21                                // 0000000059FC: 0A2E2A25
	v_mul_f32_e32 v16, s37, v16                                // 000000005A00: 0A202025
	v_exp_f32_e32 v16, v16                                     // 000000005A04: 7E204110
	v_fma_f32 v32, v32, s37, -v23                              // 000000005A08: D1CB0020 845C4B20
	v_mfma_f32_32x32x16_bf16 v[112:127], v[212:215], v[68:71], v[112:127]// 000000005A10: D3B70070 05C289D4
	v_fma_f32 v33, v33, s37, -v23                              // 000000005A18: D1CB0021 845C4B21
	v_fma_f32 v34, v34, s37, -v23                              // 000000005A20: D1CB0022 845C4B22
	v_fma_f32 v35, v35, s37, -v23                              // 000000005A28: D1CB0023 845C4B23
	v_fma_f32 v36, v36, s37, -v23                              // 000000005A30: D1CB0024 845C4B24
	v_fma_f32 v37, v37, s37, -v23                              // 000000005A38: D1CB0025 845C4B25
	v_fma_f32 v38, v38, s37, -v23                              // 000000005A40: D1CB0026 845C4B26
	v_mfma_f32_32x32x16_bf16 v[112:127], v[216:219], v[72:75], v[112:127]// 000000005A48: D3B70070 05C291D8
	v_fma_f32 v39, v39, s37, -v23                              // 000000005A50: D1CB0027 845C4B27
	v_fma_f32 v40, v40, s37, -v23                              // 000000005A58: D1CB0028 845C4B28
	v_fma_f32 v41, v41, s37, -v23                              // 000000005A60: D1CB0029 845C4B29
	v_fma_f32 v42, v42, s37, -v23                              // 000000005A68: D1CB002A 845C4B2A
	v_fma_f32 v43, v43, s37, -v23                              // 000000005A70: D1CB002B 845C4B2B
	v_fma_f32 v44, v44, s37, -v23                              // 000000005A78: D1CB002C 845C4B2C
	v_mfma_f32_32x32x16_bf16 v[112:127], v[220:223], v[76:79], v[112:127]// 000000005A80: D3B70070 05C299DC
	v_fma_f32 v45, v45, s37, -v23                              // 000000005A88: D1CB002D 845C4B2D
	v_fma_f32 v46, v46, s37, -v23                              // 000000005A90: D1CB002E 845C4B2E
	v_fma_f32 v47, v47, s37, -v23                              // 000000005A98: D1CB002F 845C4B2F
	v_fma_f32 v48, v48, s37, -v23                              // 000000005AA0: D1CB0030 845C4B30
	v_fma_f32 v49, v49, s37, -v23                              // 000000005AA8: D1CB0031 845C4B31
	v_fma_f32 v50, v50, s37, -v23                              // 000000005AB0: D1CB0032 845C4B32
	v_mfma_f32_32x32x16_bf16 v[128:143], v[224:227], v[64:67], v[128:143]// 000000005AB8: D3B70080 060281E0
	v_fma_f32 v51, v51, s37, -v23                              // 000000005AC0: D1CB0033 845C4B33
	v_fma_f32 v52, v52, s37, -v23                              // 000000005AC8: D1CB0034 845C4B34
	v_fma_f32 v53, v53, s37, -v23                              // 000000005AD0: D1CB0035 845C4B35
	v_fma_f32 v54, v54, s37, -v23                              // 000000005AD8: D1CB0036 845C4B36
	v_fma_f32 v55, v55, s37, -v23                              // 000000005AE0: D1CB0037 845C4B37
	v_fma_f32 v56, v56, s37, -v23                              // 000000005AE8: D1CB0038 845C4B38
	v_mfma_f32_32x32x16_bf16 v[128:143], v[228:231], v[68:71], v[128:143]// 000000005AF0: D3B70080 060289E4
	v_fma_f32 v57, v57, s37, -v23                              // 000000005AF8: D1CB0039 845C4B39
	v_fma_f32 v58, v58, s37, -v23                              // 000000005B00: D1CB003A 845C4B3A
	v_fma_f32 v59, v59, s37, -v23                              // 000000005B08: D1CB003B 845C4B3B
	v_fma_f32 v60, v60, s37, -v23                              // 000000005B10: D1CB003C 845C4B3C
	v_fma_f32 v61, v61, s37, -v23                              // 000000005B18: D1CB003D 845C4B3D
	v_fma_f32 v62, v62, s37, -v23                              // 000000005B20: D1CB003E 845C4B3E
	v_mfma_f32_32x32x16_bf16 v[128:143], v[232:235], v[72:75], v[128:143]// 000000005B28: D3B70080 060291E8
	v_fma_f32 v63, v63, s37, -v23                              // 000000005B30: D1CB003F 845C4B3F
	v_exp_f32_e32 v32, v32                                     // 000000005B38: 7E404120
	v_exp_f32_e32 v33, v33                                     // 000000005B3C: 7E424121
	v_exp_f32_e32 v34, v34                                     // 000000005B40: 7E444122
	v_mfma_f32_32x32x16_bf16 v[128:143], v[236:239], v[76:79], v[128:143]// 000000005B44: D3B70080 060299EC
	v_exp_f32_e32 v35, v35                                     // 000000005B4C: 7E464123
	v_exp_f32_e32 v36, v36                                     // 000000005B50: 7E484124
	v_exp_f32_e32 v37, v37                                     // 000000005B54: 7E4A4125
	v_mfma_f32_32x32x16_bf16 v[144:159], v[240:243], v[64:67], v[144:159]// 000000005B58: D3B70090 064281F0
	v_exp_f32_e32 v38, v38                                     // 000000005B60: 7E4C4126
	v_exp_f32_e32 v39, v39                                     // 000000005B64: 7E4E4127
	v_exp_f32_e32 v40, v40                                     // 000000005B68: 7E504128
	v_mfma_f32_32x32x16_bf16 v[144:159], v[244:247], v[68:71], v[144:159]// 000000005B6C: D3B70090 064289F4
	v_exp_f32_e32 v41, v41                                     // 000000005B74: 7E524129
	v_exp_f32_e32 v42, v42                                     // 000000005B78: 7E54412A
	v_exp_f32_e32 v43, v43                                     // 000000005B7C: 7E56412B
	v_mfma_f32_32x32x16_bf16 v[144:159], v[248:251], v[72:75], v[144:159]// 000000005B80: D3B70090 064291F8
	v_exp_f32_e32 v44, v44                                     // 000000005B88: 7E58412C
	v_exp_f32_e32 v45, v45                                     // 000000005B8C: 7E5A412D
	v_exp_f32_e32 v46, v46                                     // 000000005B90: 7E5C412E
	v_mfma_f32_32x32x16_bf16 v[144:159], v[252:255], v[76:79], v[144:159]// 000000005B94: D3B70090 064299FC
	v_exp_f32_e32 v47, v47                                     // 000000005B9C: 7E5E412F
	v_exp_f32_e32 v48, v48                                     // 000000005BA0: 7E604130
	v_exp_f32_e32 v49, v49                                     // 000000005BA4: 7E624131
	s_nop 0                                                    // 000000005BA8: BF800000
	v_mov_b32_e32 v17, v16                                     // 000000005BAC: 7E220310
	v_mul_f32_e32 v110, v16, v110                              // 000000005BB0: 0ADCDD10
	v_mul_f32_e32 v111, v16, v111                              // 000000005BB4: 0ADEDF10
	v_pk_mul_f32 v[112:113], v[16:17], v[112:113]              // 000000005BB8: D3B14070 1802E110
	v_pk_mul_f32 v[114:115], v[16:17], v[114:115]              // 000000005BC0: D3B14072 1802E510
	v_pk_mul_f32 v[116:117], v[16:17], v[116:117]              // 000000005BC8: D3B14074 1802E910
	v_pk_mul_f32 v[118:119], v[16:17], v[118:119]              // 000000005BD0: D3B14076 1802ED10
	v_pk_mul_f32 v[120:121], v[16:17], v[120:121]              // 000000005BD8: D3B14078 1802F110
	v_pk_mul_f32 v[122:123], v[16:17], v[122:123]              // 000000005BE0: D3B1407A 1802F510
	v_pk_mul_f32 v[124:125], v[16:17], v[124:125]              // 000000005BE8: D3B1407C 1802F910
	v_pk_mul_f32 v[126:127], v[16:17], v[126:127]              // 000000005BF0: D3B1407E 1802FD10
	v_pk_mul_f32 v[128:129], v[16:17], v[128:129]              // 000000005BF8: D3B14080 18030110
	v_pk_mul_f32 v[130:131], v[16:17], v[130:131]              // 000000005C00: D3B14082 18030510
	v_pk_mul_f32 v[132:133], v[16:17], v[132:133]              // 000000005C08: D3B14084 18030910
	v_pk_mul_f32 v[134:135], v[16:17], v[134:135]              // 000000005C10: D3B14086 18030D10
	v_pk_mul_f32 v[136:137], v[16:17], v[136:137]              // 000000005C18: D3B14088 18031110
	v_pk_mul_f32 v[138:139], v[16:17], v[138:139]              // 000000005C20: D3B1408A 18031510
	v_pk_mul_f32 v[140:141], v[16:17], v[140:141]              // 000000005C28: D3B1408C 18031910
	v_pk_mul_f32 v[142:143], v[16:17], v[142:143]              // 000000005C30: D3B1408E 18031D10
	v_pk_mul_f32 v[144:145], v[16:17], v[144:145]              // 000000005C38: D3B14090 18032110
	v_pk_mul_f32 v[146:147], v[16:17], v[146:147]              // 000000005C40: D3B14092 18032510
	v_pk_mul_f32 v[148:149], v[16:17], v[148:149]              // 000000005C48: D3B14094 18032910
	v_pk_mul_f32 v[150:151], v[16:17], v[150:151]              // 000000005C50: D3B14096 18032D10
	v_pk_mul_f32 v[152:153], v[16:17], v[152:153]              // 000000005C58: D3B14098 18033110
	v_pk_mul_f32 v[154:155], v[16:17], v[154:155]              // 000000005C60: D3B1409A 18033510
	v_pk_mul_f32 v[156:157], v[16:17], v[156:157]              // 000000005C68: D3B1409C 18033910
	v_pk_mul_f32 v[158:159], v[16:17], v[158:159]              // 000000005C70: D3B1409E 18033D10
	s_nop 0                                                    // 000000005C78: BF800000
	s_waitcnt vmcnt(4)                                         // 000000005C7C: BF8C0F74
	s_barrier                                                  // 000000005C80: BF8A0000
	s_nop 15                                                   // 000000005C84: BF80000F
	s_nop 7                                                    // 000000005C88: BF800007
	s_mov_b32 m0, s67                                          // 000000005C8C: BEFC0043
	buffer_load_dwordx4 v6, s[16:19], s35 offen lds            // 000000005C90: E05D1000 23040006
	s_add_u32 m0, 0x2200, m0                                   // 000000005C98: 807C7CFF 00002200
	buffer_load_dwordx4 v7, s[16:19], s35 offen lds            // 000000005CA0: E05D1000 23040007
	s_add_u32 m0, 0x2200, m0                                   // 000000005CA8: 807C7CFF 00002200
	s_add_i32 s35, s44, s35                                    // 000000005CB0: 8123232C
	s_nop 0                                                    // 000000005CB4: BF800000
	s_add_u32 s40, 0xc0, s39                                   // 000000005CB8: 802827FF 000000C0
	s_nop 0                                                    // 000000005CC0: BF800000
	s_cmp_lt_u32 s40, s38                                      // 000000005CC4: BF0A2628
	s_cselect_b32 s44, s44, 0                                  // 000000005CC8: 852C802C
	s_nop 15                                                   // 000000005CCC: BF80000F
	s_nop 15                                                   // 000000005CD0: BF80000F
	s_nop 7                                                    // 000000005CD4: BF800007
	ds_read_b128 v[192:195], v9                                // 000000005CD8: D9FE0000 C0000009
	ds_read_b128 v[208:211], v9 offset:512                     // 000000005CE0: D9FE0200 D0000009
	ds_read_b128 v[196:199], v9 offset:32                      // 000000005CE8: D9FE0020 C4000009
	ds_read_b128 v[212:215], v9 offset:544                     // 000000005CF0: D9FE0220 D4000009
	ds_read_b128 v[200:203], v9 offset:64                      // 000000005CF8: D9FE0040 C8000009
	ds_read_b128 v[216:219], v9 offset:576                     // 000000005D00: D9FE0240 D8000009
	ds_read_b128 v[204:207], v9 offset:96                      // 000000005D08: D9FE0060 CC000009
	ds_read_b128 v[220:223], v9 offset:608                     // 000000005D10: D9FE0260 DC000009
	ds_read_b128 v[224:227], v9 offset:8320                    // 000000005D18: D9FE2080 E0000009
	ds_read_b128 v[240:243], v9 offset:8832                    // 000000005D20: D9FE2280 F0000009
	ds_read_b128 v[228:231], v9 offset:8352                    // 000000005D28: D9FE20A0 E4000009
	ds_read_b128 v[244:247], v9 offset:8864                    // 000000005D30: D9FE22A0 F4000009
	ds_read_b128 v[232:235], v9 offset:8384                    // 000000005D38: D9FE20C0 E8000009
	ds_read_b128 v[248:251], v9 offset:8896                    // 000000005D40: D9FE22C0 F8000009
	ds_read_b128 v[236:239], v9 offset:8416                    // 000000005D48: D9FE20E0 EC000009
	ds_read_b128 v[252:255], v9 offset:8928                    // 000000005D50: D9FE22E0 FC000009
	s_add_i32 s52, s52, s53                                    // 000000005D58: 81343534
	s_addk_i32 s39, 0x40                                       // 000000005D5C: B7270040
	s_cmp_lt_i32 s39, s38                                      // 000000005D60: BF042627
	s_cbranch_scc0 label_1076                                  // 000000005D64: BF8405DC
	s_branch label_04B8                                        // 000000005D68: BF82FA1D

0000000000005d6c <label_0A9B>:
	s_setprio 1                                                // 000000005D6C: BF8F0001
	s_barrier                                                  // 000000005D70: BF8A0000

0000000000005d74 <label_0A9D>:
	s_mov_b32 m0, s67                                          // 000000005D74: BEFC0043
	buffer_load_dwordx4 v6, s[16:19], s35 offen lds            // 000000005D78: E05D1000 23040006
	s_add_u32 m0, 0x2200, m0                                   // 000000005D80: 807C7CFF 00002200
	buffer_load_dwordx4 v7, s[16:19], s35 offen lds            // 000000005D88: E05D1000 23040007
	s_add_u32 m0, 0x2200, m0                                   // 000000005D90: 807C7CFF 00002200
	s_add_i32 s35, s44, s35                                    // 000000005D98: 8123232C
	s_nop 0                                                    // 000000005D9C: BF800000
	s_add_u32 s40, 0x80, s39                                   // 000000005DA0: 802827FF 00000080
	s_nop 0                                                    // 000000005DA8: BF800000
	s_cmp_lt_u32 s40, s38                                      // 000000005DAC: BF0A2628
	s_cselect_b32 s44, s44, 0                                  // 000000005DB0: 852C802C
	ds_read_b128 v[192:195], v9                                // 000000005DB4: D9FE0000 C0000009
	ds_read_b128 v[208:211], v9 offset:512                     // 000000005DBC: D9FE0200 D0000009
	ds_read_b128 v[196:199], v9 offset:32                      // 000000005DC4: D9FE0020 C4000009
	ds_read_b128 v[212:215], v9 offset:544                     // 000000005DCC: D9FE0220 D4000009
	ds_read_b128 v[200:203], v9 offset:64                      // 000000005DD4: D9FE0040 C8000009
	ds_read_b128 v[216:219], v9 offset:576                     // 000000005DDC: D9FE0240 D8000009
	ds_read_b128 v[204:207], v9 offset:96                      // 000000005DE4: D9FE0060 CC000009
	ds_read_b128 v[220:223], v9 offset:608                     // 000000005DEC: D9FE0260 DC000009
	ds_read_b128 v[224:227], v9 offset:8320                    // 000000005DF4: D9FE2080 E0000009
	ds_read_b128 v[240:243], v9 offset:8832                    // 000000005DFC: D9FE2280 F0000009
	ds_read_b128 v[228:231], v9 offset:8352                    // 000000005E04: D9FE20A0 E4000009
	ds_read_b128 v[244:247], v9 offset:8864                    // 000000005E0C: D9FE22A0 F4000009
	ds_read_b128 v[232:235], v9 offset:8384                    // 000000005E14: D9FE20C0 E8000009
	ds_read_b128 v[248:251], v9 offset:8896                    // 000000005E1C: D9FE22C0 F8000009
	ds_read_b128 v[236:239], v9 offset:8416                    // 000000005E24: D9FE20E0 EC000009
	ds_read_b128 v[252:255], v9 offset:8928                    // 000000005E2C: D9FE22E0 FC000009
	s_waitcnt vmcnt(4) lgkmcnt(0)                              // 000000005E34: BF8C0074
	s_barrier                                                  // 000000005E38: BF8A0000
	v_mfma_f32_32x32x16_bf16 v[64:79], v[192:195], v[160:163], 0// 000000005E3C: D3B70040 020341C0
	v_exp_f32_e32 v50, v50                                     // 000000005E44: 7E644132
	v_exp_f32_e32 v51, v51                                     // 000000005E48: 7E664133
	v_exp_f32_e32 v52, v52                                     // 000000005E4C: 7E684134
	v_mfma_f32_32x32x16_bf16 v[64:79], v[196:199], v[164:167], v[64:79]// 000000005E50: D3B70040 050349C4
	v_exp_f32_e32 v53, v53                                     // 000000005E58: 7E6A4135
	v_exp_f32_e32 v54, v54                                     // 000000005E5C: 7E6C4136
	v_exp_f32_e32 v55, v55                                     // 000000005E60: 7E6E4137
	v_mfma_f32_32x32x16_bf16 v[64:79], v[200:203], v[168:171], v[64:79]// 000000005E64: D3B70040 050351C8
	v_exp_f32_e32 v56, v56                                     // 000000005E6C: 7E704138
	v_exp_f32_e32 v57, v57                                     // 000000005E70: 7E724139
	v_exp_f32_e32 v58, v58                                     // 000000005E74: 7E74413A
	v_mfma_f32_32x32x16_bf16 v[64:79], v[204:207], v[172:175], v[64:79]// 000000005E78: D3B70040 050359CC
	v_exp_f32_e32 v59, v59                                     // 000000005E80: 7E76413B
	v_exp_f32_e32 v60, v60                                     // 000000005E84: 7E78413C
	v_exp_f32_e32 v61, v61                                     // 000000005E88: 7E7A413D
	v_mfma_f32_32x32x16_bf16 v[64:79], v[224:227], v[176:179], v[64:79]// 000000005E8C: D3B70040 050361E0
	v_exp_f32_e32 v62, v62                                     // 000000005E94: 7E7C413E
	v_exp_f32_e32 v63, v63                                     // 000000005E98: 7E7E413F
	v_mul_f32_e32 v18, v16, v18                                // 000000005E9C: 0A242510
	v_add_f32_e32 v19, v33, v32                                // 000000005EA0: 02264121
	v_mfma_f32_32x32x16_bf16 v[64:79], v[228:231], v[180:183], v[64:79]// 000000005EA4: D3B70040 050369E4
	v_add_f32_e32 v19, v34, v19                                // 000000005EAC: 02262722
	v_add_f32_e32 v19, v35, v19                                // 000000005EB0: 02262723
	v_add_f32_e32 v19, v36, v19                                // 000000005EB4: 02262724
	v_add_f32_e32 v19, v37, v19                                // 000000005EB8: 02262725
	v_add_f32_e32 v19, v38, v19                                // 000000005EBC: 02262726
	v_add_f32_e32 v19, v39, v19                                // 000000005EC0: 02262727
	v_mfma_f32_32x32x16_bf16 v[64:79], v[232:235], v[184:187], v[64:79]// 000000005EC4: D3B70040 050371E8
	v_add_f32_e32 v19, v40, v19                                // 000000005ECC: 02262728
	v_add_f32_e32 v19, v41, v19                                // 000000005ED0: 02262729
	v_add_f32_e32 v19, v42, v19                                // 000000005ED4: 0226272A
	v_add_f32_e32 v19, v43, v19                                // 000000005ED8: 0226272B
	v_add_f32_e32 v19, v44, v19                                // 000000005EDC: 0226272C
	v_add_f32_e32 v19, v45, v19                                // 000000005EE0: 0226272D
	v_mfma_f32_32x32x16_bf16 v[64:79], v[236:239], v[188:191], v[64:79]// 000000005EE4: D3B70040 050379EC
	v_add_f32_e32 v19, v46, v19                                // 000000005EEC: 0226272E
	v_add_f32_e32 v19, v47, v19                                // 000000005EF0: 0226272F
	v_add_f32_e32 v19, v48, v19                                // 000000005EF4: 02262730
	v_add_f32_e32 v19, v49, v19                                // 000000005EF8: 02262731
	v_add_f32_e32 v19, v50, v19                                // 000000005EFC: 02262732
	v_add_f32_e32 v19, v51, v19                                // 000000005F00: 02262733
	v_mfma_f32_32x32x16_bf16 v[80:95], v[208:211], v[160:163], 0// 000000005F04: D3B70050 020341D0
	v_add_f32_e32 v19, v52, v19                                // 000000005F0C: 02262734
	v_add_f32_e32 v19, v53, v19                                // 000000005F10: 02262735
	v_add_f32_e32 v19, v54, v19                                // 000000005F14: 02262736
	v_add_f32_e32 v19, v55, v19                                // 000000005F18: 02262737
	v_add_f32_e32 v19, v56, v19                                // 000000005F1C: 02262738
	v_add_f32_e32 v19, v57, v19                                // 000000005F20: 02262739
	v_mfma_f32_32x32x16_bf16 v[80:95], v[212:215], v[164:167], v[80:95]// 000000005F24: D3B70050 054349D4
	v_add_f32_e32 v19, v58, v19                                // 000000005F2C: 0226273A
	v_add_f32_e32 v19, v59, v19                                // 000000005F30: 0226273B
	v_add_f32_e32 v19, v60, v19                                // 000000005F34: 0226273C
	v_add_f32_e32 v19, v61, v19                                // 000000005F38: 0226273D
	v_add_f32_e32 v19, v62, v19                                // 000000005F3C: 0226273E
	v_add_f32_e32 v19, v63, v19                                // 000000005F40: 0226273F
	v_mfma_f32_32x32x16_bf16 v[80:95], v[216:219], v[168:171], v[80:95]// 000000005F44: D3B70050 054351D8
	v_mov_b32_e32 v20, v19                                     // 000000005F4C: 7E280313
	v_mul_f32_e32 v96, v16, v96                                // 000000005F50: 0AC0C110
	v_mul_f32_e32 v97, v16, v97                                // 000000005F54: 0AC2C310
	v_permlane32_swap_b32_e32 v20, v19                         // 000000005F58: 7E28B513
	v_add_f32_e32 v20, v20, v19                                // 000000005F5C: 02282714
	v_mfma_f32_32x32x16_bf16 v[80:95], v[220:223], v[172:175], v[80:95]// 000000005F60: D3B70050 054359DC
	v_add_f32_e32 v18, v20, v18                                // 000000005F68: 02242514
	v_mul_f32_e32 v98, v16, v98                                // 000000005F6C: 0AC4C510
	v_mul_f32_e32 v99, v16, v99                                // 000000005F70: 0AC6C710
	v_mul_f32_e32 v100, v16, v100                              // 000000005F74: 0AC8C910
	v_mul_f32_e32 v101, v16, v101                              // 000000005F78: 0ACACB10
	v_mul_f32_e32 v102, v16, v102                              // 000000005F7C: 0ACCCD10
	v_mfma_f32_32x32x16_bf16 v[80:95], v[240:243], v[176:179], v[80:95]// 000000005F80: D3B70050 054361F0
	v_mul_f32_e32 v103, v16, v103                              // 000000005F88: 0ACECF10
	v_mul_f32_e32 v104, v16, v104                              // 000000005F8C: 0AD0D110
	v_mul_f32_e32 v105, v16, v105                              // 000000005F90: 0AD2D310
	v_mul_f32_e32 v106, v16, v106                              // 000000005F94: 0AD4D510
	v_mul_f32_e32 v107, v16, v107                              // 000000005F98: 0AD6D710
	v_mul_f32_e32 v108, v16, v108                              // 000000005F9C: 0AD8D910
	v_mfma_f32_32x32x16_bf16 v[80:95], v[244:247], v[180:183], v[80:95]// 000000005FA0: D3B70050 054369F4
	v_mul_f32_e32 v109, v16, v109                              // 000000005FA8: 0ADADB10
	v_cvt_pk_bf16_f32 v32, v32, v33                            // 000000005FAC: D2680020 00024320
	v_cvt_pk_bf16_f32 v33, v34, v35                            // 000000005FB4: D2680021 00024722
	v_cvt_pk_bf16_f32 v34, v36, v37                            // 000000005FBC: D2680022 00024B24
	v_cvt_pk_bf16_f32 v35, v38, v39                            // 000000005FC4: D2680023 00024F26
	v_cvt_pk_bf16_f32 v36, v40, v41                            // 000000005FCC: D2680024 00025328
	v_mfma_f32_32x32x16_bf16 v[80:95], v[248:251], v[184:187], v[80:95]// 000000005FD4: D3B70050 054371F8
	v_cvt_pk_bf16_f32 v37, v42, v43                            // 000000005FDC: D2680025 0002572A
	v_cvt_pk_bf16_f32 v38, v44, v45                            // 000000005FE4: D2680026 00025B2C
	v_cvt_pk_bf16_f32 v39, v46, v47                            // 000000005FEC: D2680027 00025F2E
	v_cvt_pk_bf16_f32 v40, v48, v49                            // 000000005FF4: D2680028 00026330
	v_cvt_pk_bf16_f32 v41, v50, v51                            // 000000005FFC: D2680029 00026732
	v_cvt_pk_bf16_f32 v42, v52, v53                            // 000000006004: D268002A 00026B34
	v_mfma_f32_32x32x16_bf16 v[80:95], v[252:255], v[188:191], v[80:95]// 00000000600C: D3B70050 054379FC
	v_cvt_pk_bf16_f32 v43, v54, v55                            // 000000006014: D268002B 00026F36
	v_cvt_pk_bf16_f32 v44, v56, v57                            // 00000000601C: D268002C 00027338
	v_cvt_pk_bf16_f32 v45, v58, v59                            // 000000006024: D268002D 0002773A
	v_cvt_pk_bf16_f32 v46, v60, v61                            // 00000000602C: D268002E 00027B3C
	v_cvt_pk_bf16_f32 v47, v62, v63                            // 000000006034: D268002F 00027F3E
	s_barrier                                                  // 00000000603C: BF8A0000
	s_cmp_lt_i32 s52, s51                                      // 000000006040: BF043334
	s_cbranch_scc1 label_0C5E                                  // 000000006044: BF85010C
	s_sub_i32 s40, s51, s52                                    // 000000006048: 81A83433
	s_sub_i32 s41, s7, s30                                     // 00000000604C: 81A91E07
	s_and_b32 s41, s41, 63                                     // 000000006050: 8629BF29
	s_add_i32 s40, s40, s41                                    // 000000006054: 81282928
	v_add_i32 v12, v25, s40                                    // 000000006058: D29C000C 00005119
	s_nop 0                                                    // 000000006060: BF800000
	v_cmp_lt_i32_e64 s[68:69], v12, 0                          // 000000006064: D0C10044 0001010C
	v_cmp_lt_i32_e64 s[70:71], v12, 1                          // 00000000606C: D0C10046 0001030C
	v_cndmask_b32_e64 v64, v64, v27, s[68:69]                  // 000000006074: D1000040 01123740
	v_cndmask_b32_e64 v65, v65, v27, s[70:71]                  // 00000000607C: D1000041 011A3741
	v_cmp_lt_i32_e64 s[68:69], v12, 2                          // 000000006084: D0C10044 0001050C
	v_cmp_lt_i32_e64 s[70:71], v12, 3                          // 00000000608C: D0C10046 0001070C
	v_cndmask_b32_e64 v66, v66, v27, s[68:69]                  // 000000006094: D1000042 01123742
	v_cndmask_b32_e64 v67, v67, v27, s[70:71]                  // 00000000609C: D1000043 011A3743
	v_cmp_lt_i32_e64 s[68:69], v12, 8                          // 0000000060A4: D0C10044 0001110C
	v_cmp_lt_i32_e64 s[70:71], v12, 9                          // 0000000060AC: D0C10046 0001130C
	v_cndmask_b32_e64 v68, v68, v27, s[68:69]                  // 0000000060B4: D1000044 01123744
	v_cndmask_b32_e64 v69, v69, v27, s[70:71]                  // 0000000060BC: D1000045 011A3745
	v_cmp_lt_i32_e64 s[68:69], v12, 10                         // 0000000060C4: D0C10044 0001150C
	v_cmp_lt_i32_e64 s[70:71], v12, 11                         // 0000000060CC: D0C10046 0001170C
	v_cndmask_b32_e64 v70, v70, v27, s[68:69]                  // 0000000060D4: D1000046 01123746
	v_cndmask_b32_e64 v71, v71, v27, s[70:71]                  // 0000000060DC: D1000047 011A3747
	v_cmp_lt_i32_e64 s[68:69], v12, 16                         // 0000000060E4: D0C10044 0001210C
	v_cmp_lt_i32_e64 s[70:71], v12, 17                         // 0000000060EC: D0C10046 0001230C
	v_cndmask_b32_e64 v72, v72, v27, s[68:69]                  // 0000000060F4: D1000048 01123748
	v_cndmask_b32_e64 v73, v73, v27, s[70:71]                  // 0000000060FC: D1000049 011A3749
	v_cmp_lt_i32_e64 s[68:69], v12, 18                         // 000000006104: D0C10044 0001250C
	v_cmp_lt_i32_e64 s[70:71], v12, 19                         // 00000000610C: D0C10046 0001270C
	v_cndmask_b32_e64 v74, v74, v27, s[68:69]                  // 000000006114: D100004A 0112374A
	v_cndmask_b32_e64 v75, v75, v27, s[70:71]                  // 00000000611C: D100004B 011A374B
	v_cmp_lt_i32_e64 s[68:69], v12, 24                         // 000000006124: D0C10044 0001310C
	v_cmp_lt_i32_e64 s[70:71], v12, 25                         // 00000000612C: D0C10046 0001330C
	v_cndmask_b32_e64 v76, v76, v27, s[68:69]                  // 000000006134: D100004C 0112374C
	v_cndmask_b32_e64 v77, v77, v27, s[70:71]                  // 00000000613C: D100004D 011A374D
	v_cmp_lt_i32_e64 s[68:69], v12, 26                         // 000000006144: D0C10044 0001350C
	v_cmp_lt_i32_e64 s[70:71], v12, 27                         // 00000000614C: D0C10046 0001370C
	v_cndmask_b32_e64 v78, v78, v27, s[68:69]                  // 000000006154: D100004E 0112374E
	v_cndmask_b32_e64 v79, v79, v27, s[70:71]                  // 00000000615C: D100004F 011A374F
	v_cmp_lt_i32_e64 s[68:69], v12, 32                         // 000000006164: D0C10044 0001410C
	v_cmp_lt_i32_e64 s[70:71], v12, 33                         // 00000000616C: D0C10046 0001430C
	v_cndmask_b32_e64 v80, v80, v27, s[68:69]                  // 000000006174: D1000050 01123750
	v_cndmask_b32_e64 v81, v81, v27, s[70:71]                  // 00000000617C: D1000051 011A3751
	v_cmp_lt_i32_e64 s[68:69], v12, 34                         // 000000006184: D0C10044 0001450C
	v_cmp_lt_i32_e64 s[70:71], v12, 35                         // 00000000618C: D0C10046 0001470C
	v_cndmask_b32_e64 v82, v82, v27, s[68:69]                  // 000000006194: D1000052 01123752
	v_cndmask_b32_e64 v83, v83, v27, s[70:71]                  // 00000000619C: D1000053 011A3753
	v_cmp_lt_i32_e64 s[68:69], v12, 40                         // 0000000061A4: D0C10044 0001510C
	v_cmp_lt_i32_e64 s[70:71], v12, 41                         // 0000000061AC: D0C10046 0001530C
	v_cndmask_b32_e64 v84, v84, v27, s[68:69]                  // 0000000061B4: D1000054 01123754
	v_cndmask_b32_e64 v85, v85, v27, s[70:71]                  // 0000000061BC: D1000055 011A3755
	v_cmp_lt_i32_e64 s[68:69], v12, 42                         // 0000000061C4: D0C10044 0001550C
	v_cmp_lt_i32_e64 s[70:71], v12, 43                         // 0000000061CC: D0C10046 0001570C
	v_cndmask_b32_e64 v86, v86, v27, s[68:69]                  // 0000000061D4: D1000056 01123756
	v_cndmask_b32_e64 v87, v87, v27, s[70:71]                  // 0000000061DC: D1000057 011A3757
	v_cmp_lt_i32_e64 s[68:69], v12, 48                         // 0000000061E4: D0C10044 0001610C
	v_cmp_lt_i32_e64 s[70:71], v12, 49                         // 0000000061EC: D0C10046 0001630C
	v_cndmask_b32_e64 v88, v88, v27, s[68:69]                  // 0000000061F4: D1000058 01123758
	v_cndmask_b32_e64 v89, v89, v27, s[70:71]                  // 0000000061FC: D1000059 011A3759
	v_cmp_lt_i32_e64 s[68:69], v12, 50                         // 000000006204: D0C10044 0001650C
	v_cmp_lt_i32_e64 s[70:71], v12, 51                         // 00000000620C: D0C10046 0001670C
	v_cndmask_b32_e64 v90, v90, v27, s[68:69]                  // 000000006214: D100005A 0112375A
	v_cndmask_b32_e64 v91, v91, v27, s[70:71]                  // 00000000621C: D100005B 011A375B
	v_cmp_lt_i32_e64 s[68:69], v12, 56                         // 000000006224: D0C10044 0001710C
	v_cmp_lt_i32_e64 s[70:71], v12, 57                         // 00000000622C: D0C10046 0001730C
	v_cndmask_b32_e64 v92, v92, v27, s[68:69]                  // 000000006234: D100005C 0112375C
	v_cndmask_b32_e64 v93, v93, v27, s[70:71]                  // 00000000623C: D100005D 011A375D
	v_cmp_lt_i32_e64 s[68:69], v12, 58                         // 000000006244: D0C10044 0001750C
	v_cmp_lt_i32_e64 s[70:71], v12, 59                         // 00000000624C: D0C10046 0001770C
	v_cndmask_b32_e64 v94, v94, v27, s[68:69]                  // 000000006254: D100005E 0112375E
	v_cndmask_b32_e64 v95, v95, v27, s[70:71]                  // 00000000625C: D100005F 011A375F
	s_cmp_lt_i32 s52, s54                                      // 000000006264: BF043634
	s_cbranch_scc1 label_0C5E                                  // 000000006268: BF850083
	s_sub_i32 s40, s7, s52                                     // 00000000626C: 81A83407
	v_sub_i32 v12, s40, v26                                    // 000000006270: D29D000C 00023428
	v_cmp_lt_i32_e64 s[68:69], 0, v12                          // 000000006278: D0C10044 00021880
	v_cmp_lt_i32_e64 s[70:71], 1, v12                          // 000000006280: D0C10046 00021881
	v_cndmask_b32_e64 v64, v27, v64, s[68:69]                  // 000000006288: D1000040 0112811B
	v_cndmask_b32_e64 v65, v27, v65, s[70:71]                  // 000000006290: D1000041 011A831B
	v_cmp_lt_i32_e64 s[68:69], 2, v12                          // 000000006298: D0C10044 00021882
	v_cmp_lt_i32_e64 s[70:71], 3, v12                          // 0000000062A0: D0C10046 00021883
	v_cndmask_b32_e64 v66, v27, v66, s[68:69]                  // 0000000062A8: D1000042 0112851B
	v_cndmask_b32_e64 v67, v27, v67, s[70:71]                  // 0000000062B0: D1000043 011A871B
	v_cmp_lt_i32_e64 s[68:69], 8, v12                          // 0000000062B8: D0C10044 00021888
	v_cmp_lt_i32_e64 s[70:71], 9, v12                          // 0000000062C0: D0C10046 00021889
	v_cndmask_b32_e64 v68, v27, v68, s[68:69]                  // 0000000062C8: D1000044 0112891B
	v_cndmask_b32_e64 v69, v27, v69, s[70:71]                  // 0000000062D0: D1000045 011A8B1B
	v_cmp_lt_i32_e64 s[68:69], 10, v12                         // 0000000062D8: D0C10044 0002188A
	v_cmp_lt_i32_e64 s[70:71], 11, v12                         // 0000000062E0: D0C10046 0002188B
	v_cndmask_b32_e64 v70, v27, v70, s[68:69]                  // 0000000062E8: D1000046 01128D1B
	v_cndmask_b32_e64 v71, v27, v71, s[70:71]                  // 0000000062F0: D1000047 011A8F1B
	v_cmp_lt_i32_e64 s[68:69], 16, v12                         // 0000000062F8: D0C10044 00021890
	v_cmp_lt_i32_e64 s[70:71], 17, v12                         // 000000006300: D0C10046 00021891
	v_cndmask_b32_e64 v72, v27, v72, s[68:69]                  // 000000006308: D1000048 0112911B
	v_cndmask_b32_e64 v73, v27, v73, s[70:71]                  // 000000006310: D1000049 011A931B
	v_cmp_lt_i32_e64 s[68:69], 18, v12                         // 000000006318: D0C10044 00021892
	v_cmp_lt_i32_e64 s[70:71], 19, v12                         // 000000006320: D0C10046 00021893
	v_cndmask_b32_e64 v74, v27, v74, s[68:69]                  // 000000006328: D100004A 0112951B
	v_cndmask_b32_e64 v75, v27, v75, s[70:71]                  // 000000006330: D100004B 011A971B
	v_cmp_lt_i32_e64 s[68:69], 24, v12                         // 000000006338: D0C10044 00021898
	v_cmp_lt_i32_e64 s[70:71], 25, v12                         // 000000006340: D0C10046 00021899
	v_cndmask_b32_e64 v76, v27, v76, s[68:69]                  // 000000006348: D100004C 0112991B
	v_cndmask_b32_e64 v77, v27, v77, s[70:71]                  // 000000006350: D100004D 011A9B1B
	v_cmp_lt_i32_e64 s[68:69], 26, v12                         // 000000006358: D0C10044 0002189A
	v_cmp_lt_i32_e64 s[70:71], 27, v12                         // 000000006360: D0C10046 0002189B
	v_cndmask_b32_e64 v78, v27, v78, s[68:69]                  // 000000006368: D100004E 01129D1B
	v_cndmask_b32_e64 v79, v27, v79, s[70:71]                  // 000000006370: D100004F 011A9F1B
	v_cmp_lt_i32_e64 s[68:69], 32, v12                         // 000000006378: D0C10044 000218A0
	v_cmp_lt_i32_e64 s[70:71], 33, v12                         // 000000006380: D0C10046 000218A1
	v_cndmask_b32_e64 v80, v27, v80, s[68:69]                  // 000000006388: D1000050 0112A11B
	v_cndmask_b32_e64 v81, v27, v81, s[70:71]                  // 000000006390: D1000051 011AA31B
	v_cmp_lt_i32_e64 s[68:69], 34, v12                         // 000000006398: D0C10044 000218A2
	v_cmp_lt_i32_e64 s[70:71], 35, v12                         // 0000000063A0: D0C10046 000218A3
	v_cndmask_b32_e64 v82, v27, v82, s[68:69]                  // 0000000063A8: D1000052 0112A51B
	v_cndmask_b32_e64 v83, v27, v83, s[70:71]                  // 0000000063B0: D1000053 011AA71B
	v_cmp_lt_i32_e64 s[68:69], 40, v12                         // 0000000063B8: D0C10044 000218A8
	v_cmp_lt_i32_e64 s[70:71], 41, v12                         // 0000000063C0: D0C10046 000218A9
	v_cndmask_b32_e64 v84, v27, v84, s[68:69]                  // 0000000063C8: D1000054 0112A91B
	v_cndmask_b32_e64 v85, v27, v85, s[70:71]                  // 0000000063D0: D1000055 011AAB1B
	v_cmp_lt_i32_e64 s[68:69], 42, v12                         // 0000000063D8: D0C10044 000218AA
	v_cmp_lt_i32_e64 s[70:71], 43, v12                         // 0000000063E0: D0C10046 000218AB
	v_cndmask_b32_e64 v86, v27, v86, s[68:69]                  // 0000000063E8: D1000056 0112AD1B
	v_cndmask_b32_e64 v87, v27, v87, s[70:71]                  // 0000000063F0: D1000057 011AAF1B
	v_cmp_lt_i32_e64 s[68:69], 48, v12                         // 0000000063F8: D0C10044 000218B0
	v_cmp_lt_i32_e64 s[70:71], 49, v12                         // 000000006400: D0C10046 000218B1
	v_cndmask_b32_e64 v88, v27, v88, s[68:69]                  // 000000006408: D1000058 0112B11B
	v_cndmask_b32_e64 v89, v27, v89, s[70:71]                  // 000000006410: D1000059 011AB31B
	v_cmp_lt_i32_e64 s[68:69], 50, v12                         // 000000006418: D0C10044 000218B2
	v_cmp_lt_i32_e64 s[70:71], 51, v12                         // 000000006420: D0C10046 000218B3
	v_cndmask_b32_e64 v90, v27, v90, s[68:69]                  // 000000006428: D100005A 0112B51B
	v_cndmask_b32_e64 v91, v27, v91, s[70:71]                  // 000000006430: D100005B 011AB71B
	v_cmp_lt_i32_e64 s[68:69], 56, v12                         // 000000006438: D0C10044 000218B8
	v_cmp_lt_i32_e64 s[70:71], 57, v12                         // 000000006440: D0C10046 000218B9
	v_cndmask_b32_e64 v92, v27, v92, s[68:69]                  // 000000006448: D100005C 0112B91B
	v_cndmask_b32_e64 v93, v27, v93, s[70:71]                  // 000000006450: D100005D 011ABB1B
	v_cmp_lt_i32_e64 s[68:69], 58, v12                         // 000000006458: D0C10044 000218BA
	v_cmp_lt_i32_e64 s[70:71], 59, v12                         // 000000006460: D0C10046 000218BB
	v_cndmask_b32_e64 v94, v27, v94, s[68:69]                  // 000000006468: D100005E 0112BD1B
	v_cndmask_b32_e64 v95, v27, v95, s[70:71]                  // 000000006470: D100005F 011ABF1B

0000000000006478 <label_0C5E>:
	s_nop 0                                                    // 000000006478: BF800000
	s_mov_b32 m0, s65                                          // 00000000647C: BEFC0041
	buffer_load_dwordx4 v4, s[12:15], s34 offen lds            // 000000006480: E05D1000 22030004
	s_add_u32 m0, 0x2080, m0                                   // 000000006488: 807C7CFF 00002080
	buffer_load_dwordx4 v5, s[12:15], s34 offen lds            // 000000006490: E05D1000 22030005
	s_add_u32 m0, 0x2080, m0                                   // 000000006498: 807C7CFF 00002080
	s_add_i32 s34, s43, s34                                    // 0000000064A0: 8122222B
	s_nop 0                                                    // 0000000064A4: BF800000
	s_add_u32 s40, 0x100, s39                                  // 0000000064A8: 802827FF 00000100
	s_nop 0                                                    // 0000000064B0: BF800000
	s_cmp_lt_u32 s40, s38                                      // 0000000064B4: BF0A2628
	s_cselect_b32 s43, s43, 0                                  // 0000000064B8: 852B802B
	s_nop 15                                                   // 0000000064BC: BF80000F
	s_nop 8                                                    // 0000000064C0: BF800008
	s_nop 7                                                    // 0000000064C4: BF800007
	ds_read_b64_tr_b16 v[192:193], v10                         // 0000000064C8: D9C60000 C000000A
	ds_read_b64_tr_b16 v[194:195], v10 offset:512              // 0000000064D0: D9C60200 C200000A
	ds_read_b64_tr_b16 v[208:209], v10 offset:64               // 0000000064D8: D9C60040 D000000A
	ds_read_b64_tr_b16 v[210:211], v10 offset:576              // 0000000064E0: D9C60240 D200000A
	ds_read_b64_tr_b16 v[196:197], v10 offset:2176             // 0000000064E8: D9C60880 C400000A
	ds_read_b64_tr_b16 v[198:199], v10 offset:2688             // 0000000064F0: D9C60A80 C600000A
	ds_read_b64_tr_b16 v[212:213], v10 offset:2240             // 0000000064F8: D9C608C0 D400000A
	ds_read_b64_tr_b16 v[214:215], v10 offset:2752             // 000000006500: D9C60AC0 D600000A
	ds_read_b64_tr_b16 v[200:201], v10 offset:4352             // 000000006508: D9C61100 C800000A
	ds_read_b64_tr_b16 v[202:203], v10 offset:4864             // 000000006510: D9C61300 CA00000A
	ds_read_b64_tr_b16 v[216:217], v10 offset:4416             // 000000006518: D9C61140 D800000A
	ds_read_b64_tr_b16 v[218:219], v10 offset:4928             // 000000006520: D9C61340 DA00000A
	ds_read_b64_tr_b16 v[204:205], v10 offset:6528             // 000000006528: D9C61980 CC00000A
	ds_read_b64_tr_b16 v[206:207], v10 offset:7040             // 000000006530: D9C61B80 CE00000A
	ds_read_b64_tr_b16 v[220:221], v10 offset:6592             // 000000006538: D9C619C0 DC00000A
	ds_read_b64_tr_b16 v[222:223], v10 offset:7104             // 000000006540: D9C61BC0 DE00000A
	ds_read_b64_tr_b16 v[224:225], v10 offset:8704             // 000000006548: D9C62200 E000000A
	ds_read_b64_tr_b16 v[226:227], v10 offset:9216             // 000000006550: D9C62400 E200000A
	ds_read_b64_tr_b16 v[240:241], v10 offset:8768             // 000000006558: D9C62240 F000000A
	ds_read_b64_tr_b16 v[242:243], v10 offset:9280             // 000000006560: D9C62440 F200000A
	ds_read_b64_tr_b16 v[228:229], v10 offset:10880            // 000000006568: D9C62A80 E400000A
	ds_read_b64_tr_b16 v[230:231], v10 offset:11392            // 000000006570: D9C62C80 E600000A
	ds_read_b64_tr_b16 v[244:245], v10 offset:10944            // 000000006578: D9C62AC0 F400000A
	ds_read_b64_tr_b16 v[246:247], v10 offset:11456            // 000000006580: D9C62CC0 F600000A
	ds_read_b64_tr_b16 v[232:233], v10 offset:13056            // 000000006588: D9C63300 E800000A
	ds_read_b64_tr_b16 v[234:235], v10 offset:13568            // 000000006590: D9C63500 EA00000A
	ds_read_b64_tr_b16 v[248:249], v10 offset:13120            // 000000006598: D9C63340 F800000A
	ds_read_b64_tr_b16 v[250:251], v10 offset:13632            // 0000000065A0: D9C63540 FA00000A
	ds_read_b64_tr_b16 v[236:237], v10 offset:15232            // 0000000065A8: D9C63B80 EC00000A
	ds_read_b64_tr_b16 v[238:239], v10 offset:15744            // 0000000065B0: D9C63D80 EE00000A
	ds_read_b64_tr_b16 v[252:253], v10 offset:15296            // 0000000065B8: D9C63BC0 FC00000A
	ds_read_b64_tr_b16 v[254:255], v10 offset:15808            // 0000000065C0: D9C63DC0 FE00000A
	s_add_i32 s52, s52, s53                                    // 0000000065C8: 81343534
	s_addk_i32 s39, 0x40                                       // 0000000065CC: B7270040
	s_cmp_lt_i32 s39, s38                                      // 0000000065D0: BF042627
	s_waitcnt vmcnt(4) lgkmcnt(0)                              // 0000000065D4: BF8C0074
	s_barrier                                                  // 0000000065D8: BF8A0000
	v_mfma_f32_32x32x16_bf16 v[96:111], v[192:195], v[32:35], v[96:111]// 0000000065DC: D3B70060 058241C0
	v_mov_b32_e32 v21, v24                                     // 0000000065E4: 7E2A0318
	v_max3_f32 v21, v64, v65, v21                              // 0000000065E8: D1D30015 04568340
	v_max3_f32 v21, v66, v67, v21                              // 0000000065F0: D1D30015 04568742
	v_max3_f32 v21, v68, v69, v21                              // 0000000065F8: D1D30015 04568B44
	v_max3_f32 v21, v70, v71, v21                              // 000000006600: D1D30015 04568F46
	v_max3_f32 v21, v72, v73, v21                              // 000000006608: D1D30015 04569348
	v_mfma_f32_32x32x16_bf16 v[96:111], v[196:199], v[36:39], v[96:111]// 000000006610: D3B70060 058249C4
	v_max3_f32 v21, v74, v75, v21                              // 000000006618: D1D30015 0456974A
	v_max3_f32 v21, v76, v77, v21                              // 000000006620: D1D30015 04569B4C
	v_max3_f32 v21, v78, v79, v21                              // 000000006628: D1D30015 04569F4E
	v_max3_f32 v21, v80, v81, v21                              // 000000006630: D1D30015 0456A350
	v_max3_f32 v21, v82, v83, v21                              // 000000006638: D1D30015 0456A752
	v_max3_f32 v21, v84, v85, v21                              // 000000006640: D1D30015 0456AB54
	v_mfma_f32_32x32x16_bf16 v[96:111], v[200:203], v[40:43], v[96:111]// 000000006648: D3B70060 058251C8
	v_max3_f32 v21, v86, v87, v21                              // 000000006650: D1D30015 0456AF56
	v_max3_f32 v21, v88, v89, v21                              // 000000006658: D1D30015 0456B358
	v_max3_f32 v21, v90, v91, v21                              // 000000006660: D1D30015 0456B75A
	v_max3_f32 v21, v92, v93, v21                              // 000000006668: D1D30015 0456BB5C
	v_max3_f32 v21, v94, v95, v21                              // 000000006670: D1D30015 0456BF5E
	v_mov_b32_e32 v20, v21                                     // 000000006678: 7E280315
	v_mfma_f32_32x32x16_bf16 v[96:111], v[204:207], v[44:47], v[96:111]// 00000000667C: D3B70060 058259CC
	v_nop                                                      // 000000006684: 7E000000
	v_nop                                                      // 000000006688: 7E000000
	v_permlane32_swap_b32_e32 v20, v21                         // 00000000668C: 7E28B515
	v_max_f32_e32 v21, v20, v21                                // 000000006690: 162A2B14
	v_sub_f32_e32 v16, v24, v21                                // 000000006694: 04202B18
	v_mfma_f32_32x32x16_bf16 v[112:127], v[208:211], v[32:35], v[112:127]// 000000006698: D3B70070 05C241D0
	v_mov_b32_e32 v24, v21                                     // 0000000066A0: 7E300315
	v_mul_f32_e32 v23, s37, v21                                // 0000000066A4: 0A2E2A25
	v_mul_f32_e32 v16, s37, v16                                // 0000000066A8: 0A202025
	v_exp_f32_e32 v16, v16                                     // 0000000066AC: 7E204110
	v_fma_f32 v64, v64, s37, -v23                              // 0000000066B0: D1CB0040 845C4B40
	v_mfma_f32_32x32x16_bf16 v[112:127], v[212:215], v[36:39], v[112:127]// 0000000066B8: D3B70070 05C249D4
	v_fma_f32 v65, v65, s37, -v23                              // 0000000066C0: D1CB0041 845C4B41
	v_fma_f32 v66, v66, s37, -v23                              // 0000000066C8: D1CB0042 845C4B42
	v_fma_f32 v67, v67, s37, -v23                              // 0000000066D0: D1CB0043 845C4B43
	v_fma_f32 v68, v68, s37, -v23                              // 0000000066D8: D1CB0044 845C4B44
	v_fma_f32 v69, v69, s37, -v23                              // 0000000066E0: D1CB0045 845C4B45
	v_fma_f32 v70, v70, s37, -v23                              // 0000000066E8: D1CB0046 845C4B46
	v_mfma_f32_32x32x16_bf16 v[112:127], v[216:219], v[40:43], v[112:127]// 0000000066F0: D3B70070 05C251D8
	v_fma_f32 v71, v71, s37, -v23                              // 0000000066F8: D1CB0047 845C4B47
	v_fma_f32 v72, v72, s37, -v23                              // 000000006700: D1CB0048 845C4B48
	v_fma_f32 v73, v73, s37, -v23                              // 000000006708: D1CB0049 845C4B49
	v_fma_f32 v74, v74, s37, -v23                              // 000000006710: D1CB004A 845C4B4A
	v_fma_f32 v75, v75, s37, -v23                              // 000000006718: D1CB004B 845C4B4B
	v_fma_f32 v76, v76, s37, -v23                              // 000000006720: D1CB004C 845C4B4C
	v_mfma_f32_32x32x16_bf16 v[112:127], v[220:223], v[44:47], v[112:127]// 000000006728: D3B70070 05C259DC
	v_fma_f32 v77, v77, s37, -v23                              // 000000006730: D1CB004D 845C4B4D
	v_fma_f32 v78, v78, s37, -v23                              // 000000006738: D1CB004E 845C4B4E
	v_fma_f32 v79, v79, s37, -v23                              // 000000006740: D1CB004F 845C4B4F
	v_fma_f32 v80, v80, s37, -v23                              // 000000006748: D1CB0050 845C4B50
	v_fma_f32 v81, v81, s37, -v23                              // 000000006750: D1CB0051 845C4B51
	v_fma_f32 v82, v82, s37, -v23                              // 000000006758: D1CB0052 845C4B52
	v_mfma_f32_32x32x16_bf16 v[128:143], v[224:227], v[32:35], v[128:143]// 000000006760: D3B70080 060241E0
	v_fma_f32 v83, v83, s37, -v23                              // 000000006768: D1CB0053 845C4B53
	v_fma_f32 v84, v84, s37, -v23                              // 000000006770: D1CB0054 845C4B54
	v_fma_f32 v85, v85, s37, -v23                              // 000000006778: D1CB0055 845C4B55
	v_fma_f32 v86, v86, s37, -v23                              // 000000006780: D1CB0056 845C4B56
	v_fma_f32 v87, v87, s37, -v23                              // 000000006788: D1CB0057 845C4B57
	v_fma_f32 v88, v88, s37, -v23                              // 000000006790: D1CB0058 845C4B58
	v_mfma_f32_32x32x16_bf16 v[128:143], v[228:231], v[36:39], v[128:143]// 000000006798: D3B70080 060249E4
	v_fma_f32 v89, v89, s37, -v23                              // 0000000067A0: D1CB0059 845C4B59
	v_fma_f32 v90, v90, s37, -v23                              // 0000000067A8: D1CB005A 845C4B5A
	v_fma_f32 v91, v91, s37, -v23                              // 0000000067B0: D1CB005B 845C4B5B
	v_fma_f32 v92, v92, s37, -v23                              // 0000000067B8: D1CB005C 845C4B5C
	v_fma_f32 v93, v93, s37, -v23                              // 0000000067C0: D1CB005D 845C4B5D
	v_fma_f32 v94, v94, s37, -v23                              // 0000000067C8: D1CB005E 845C4B5E
	v_mfma_f32_32x32x16_bf16 v[128:143], v[232:235], v[40:43], v[128:143]// 0000000067D0: D3B70080 060251E8
	v_fma_f32 v95, v95, s37, -v23                              // 0000000067D8: D1CB005F 845C4B5F
	v_exp_f32_e32 v64, v64                                     // 0000000067E0: 7E804140
	v_exp_f32_e32 v65, v65                                     // 0000000067E4: 7E824141
	v_exp_f32_e32 v66, v66                                     // 0000000067E8: 7E844142
	v_mfma_f32_32x32x16_bf16 v[128:143], v[236:239], v[44:47], v[128:143]// 0000000067EC: D3B70080 060259EC
	v_exp_f32_e32 v67, v67                                     // 0000000067F4: 7E864143
	v_exp_f32_e32 v68, v68                                     // 0000000067F8: 7E884144
	v_exp_f32_e32 v69, v69                                     // 0000000067FC: 7E8A4145
	v_mfma_f32_32x32x16_bf16 v[144:159], v[240:243], v[32:35], v[144:159]// 000000006800: D3B70090 064241F0
	v_exp_f32_e32 v70, v70                                     // 000000006808: 7E8C4146
	v_exp_f32_e32 v71, v71                                     // 00000000680C: 7E8E4147
	v_exp_f32_e32 v72, v72                                     // 000000006810: 7E904148
	v_mfma_f32_32x32x16_bf16 v[144:159], v[244:247], v[36:39], v[144:159]// 000000006814: D3B70090 064249F4
	v_exp_f32_e32 v73, v73                                     // 00000000681C: 7E924149
	v_exp_f32_e32 v74, v74                                     // 000000006820: 7E94414A
	v_exp_f32_e32 v75, v75                                     // 000000006824: 7E96414B
	v_mfma_f32_32x32x16_bf16 v[144:159], v[248:251], v[40:43], v[144:159]// 000000006828: D3B70090 064251F8
	v_exp_f32_e32 v76, v76                                     // 000000006830: 7E98414C
	v_exp_f32_e32 v77, v77                                     // 000000006834: 7E9A414D
	v_exp_f32_e32 v78, v78                                     // 000000006838: 7E9C414E
	v_mfma_f32_32x32x16_bf16 v[144:159], v[252:255], v[44:47], v[144:159]// 00000000683C: D3B70090 064259FC
	v_exp_f32_e32 v79, v79                                     // 000000006844: 7E9E414F
	v_exp_f32_e32 v80, v80                                     // 000000006848: 7EA04150
	v_exp_f32_e32 v81, v81                                     // 00000000684C: 7EA24151
	v_nop                                                      // 000000006850: 7E000000
	v_mov_b32_e32 v17, v16                                     // 000000006854: 7E220310
	v_mul_f32_e32 v110, v16, v110                              // 000000006858: 0ADCDD10
	v_mul_f32_e32 v111, v16, v111                              // 00000000685C: 0ADEDF10
	v_pk_mul_f32 v[112:113], v[16:17], v[112:113]              // 000000006860: D3B14070 1802E110
	v_pk_mul_f32 v[114:115], v[16:17], v[114:115]              // 000000006868: D3B14072 1802E510
	v_pk_mul_f32 v[116:117], v[16:17], v[116:117]              // 000000006870: D3B14074 1802E910
	v_pk_mul_f32 v[118:119], v[16:17], v[118:119]              // 000000006878: D3B14076 1802ED10
	v_pk_mul_f32 v[120:121], v[16:17], v[120:121]              // 000000006880: D3B14078 1802F110
	v_pk_mul_f32 v[122:123], v[16:17], v[122:123]              // 000000006888: D3B1407A 1802F510
	v_pk_mul_f32 v[124:125], v[16:17], v[124:125]              // 000000006890: D3B1407C 1802F910
	v_pk_mul_f32 v[126:127], v[16:17], v[126:127]              // 000000006898: D3B1407E 1802FD10
	v_pk_mul_f32 v[128:129], v[16:17], v[128:129]              // 0000000068A0: D3B14080 18030110
	v_pk_mul_f32 v[130:131], v[16:17], v[130:131]              // 0000000068A8: D3B14082 18030510
	v_pk_mul_f32 v[132:133], v[16:17], v[132:133]              // 0000000068B0: D3B14084 18030910
	v_pk_mul_f32 v[134:135], v[16:17], v[134:135]              // 0000000068B8: D3B14086 18030D10
	v_pk_mul_f32 v[136:137], v[16:17], v[136:137]              // 0000000068C0: D3B14088 18031110
	v_pk_mul_f32 v[138:139], v[16:17], v[138:139]              // 0000000068C8: D3B1408A 18031510
	v_pk_mul_f32 v[140:141], v[16:17], v[140:141]              // 0000000068D0: D3B1408C 18031910
	v_pk_mul_f32 v[142:143], v[16:17], v[142:143]              // 0000000068D8: D3B1408E 18031D10
	v_pk_mul_f32 v[144:145], v[16:17], v[144:145]              // 0000000068E0: D3B14090 18032110
	v_pk_mul_f32 v[146:147], v[16:17], v[146:147]              // 0000000068E8: D3B14092 18032510
	v_pk_mul_f32 v[148:149], v[16:17], v[148:149]              // 0000000068F0: D3B14094 18032910
	v_pk_mul_f32 v[150:151], v[16:17], v[150:151]              // 0000000068F8: D3B14096 18032D10
	v_pk_mul_f32 v[152:153], v[16:17], v[152:153]              // 000000006900: D3B14098 18033110
	v_pk_mul_f32 v[154:155], v[16:17], v[154:155]              // 000000006908: D3B1409A 18033510
	v_pk_mul_f32 v[156:157], v[16:17], v[156:157]              // 000000006910: D3B1409C 18033910
	v_pk_mul_f32 v[158:159], v[16:17], v[158:159]              // 000000006918: D3B1409E 18033D10
	s_cbranch_scc0 label_1076                                  // 000000006920: BF8402ED
	s_mov_b32 m0, s66                                          // 000000006924: BEFC0042
	buffer_load_dwordx4 v6, s[16:19], s35 offen lds            // 000000006928: E05D1000 23040006
	s_add_u32 m0, 0x2200, m0                                   // 000000006930: 807C7CFF 00002200
	buffer_load_dwordx4 v7, s[16:19], s35 offen lds            // 000000006938: E05D1000 23040007
	s_add_u32 m0, 0x2200, m0                                   // 000000006940: 807C7CFF 00002200
	s_add_i32 s35, s44, s35                                    // 000000006948: 8123232C
	s_nop 0                                                    // 00000000694C: BF800000
	s_add_u32 s40, 0x80, s39                                   // 000000006950: 802827FF 00000080
	s_nop 0                                                    // 000000006958: BF800000
	s_cmp_lt_u32 s40, s38                                      // 00000000695C: BF0A2628
	s_cselect_b32 s44, s44, 0                                  // 000000006960: 852C802C
	ds_read_b128 v[192:195], v8                                // 000000006964: D9FE0000 C0000008
	ds_read_b128 v[208:211], v8 offset:512                     // 00000000696C: D9FE0200 D0000008
	ds_read_b128 v[196:199], v8 offset:32                      // 000000006974: D9FE0020 C4000008
	ds_read_b128 v[212:215], v8 offset:544                     // 00000000697C: D9FE0220 D4000008
	ds_read_b128 v[200:203], v8 offset:64                      // 000000006984: D9FE0040 C8000008
	ds_read_b128 v[216:219], v8 offset:576                     // 00000000698C: D9FE0240 D8000008
	ds_read_b128 v[204:207], v8 offset:96                      // 000000006994: D9FE0060 CC000008
	ds_read_b128 v[220:223], v8 offset:608                     // 00000000699C: D9FE0260 DC000008
	ds_read_b128 v[224:227], v8 offset:8320                    // 0000000069A4: D9FE2080 E0000008
	ds_read_b128 v[240:243], v8 offset:8832                    // 0000000069AC: D9FE2280 F0000008
	ds_read_b128 v[228:231], v8 offset:8352                    // 0000000069B4: D9FE20A0 E4000008
	ds_read_b128 v[244:247], v8 offset:8864                    // 0000000069BC: D9FE22A0 F4000008
	ds_read_b128 v[232:235], v8 offset:8384                    // 0000000069C4: D9FE20C0 E8000008
	ds_read_b128 v[248:251], v8 offset:8896                    // 0000000069CC: D9FE22C0 F8000008
	ds_read_b128 v[236:239], v8 offset:8416                    // 0000000069D4: D9FE20E0 EC000008
	ds_read_b128 v[252:255], v8 offset:8928                    // 0000000069DC: D9FE22E0 FC000008
	s_waitcnt vmcnt(4) lgkmcnt(0)                              // 0000000069E4: BF8C0074
	s_barrier                                                  // 0000000069E8: BF8A0000
	v_mfma_f32_32x32x16_bf16 v[32:47], v[192:195], v[160:163], 0// 0000000069EC: D3B70020 020341C0
	v_exp_f32_e32 v82, v82                                     // 0000000069F4: 7EA44152
	v_exp_f32_e32 v83, v83                                     // 0000000069F8: 7EA64153
	v_exp_f32_e32 v84, v84                                     // 0000000069FC: 7EA84154
	v_mfma_f32_32x32x16_bf16 v[32:47], v[196:199], v[164:167], v[32:47]// 000000006A00: D3B70020 048349C4
	v_exp_f32_e32 v85, v85                                     // 000000006A08: 7EAA4155
	v_exp_f32_e32 v86, v86                                     // 000000006A0C: 7EAC4156
	v_exp_f32_e32 v87, v87                                     // 000000006A10: 7EAE4157
	v_mfma_f32_32x32x16_bf16 v[32:47], v[200:203], v[168:171], v[32:47]// 000000006A14: D3B70020 048351C8
	v_exp_f32_e32 v88, v88                                     // 000000006A1C: 7EB04158
	v_exp_f32_e32 v89, v89                                     // 000000006A20: 7EB24159
	v_exp_f32_e32 v90, v90                                     // 000000006A24: 7EB4415A
	v_mfma_f32_32x32x16_bf16 v[32:47], v[204:207], v[172:175], v[32:47]// 000000006A28: D3B70020 048359CC
	v_exp_f32_e32 v91, v91                                     // 000000006A30: 7EB6415B
	v_exp_f32_e32 v92, v92                                     // 000000006A34: 7EB8415C
	v_exp_f32_e32 v93, v93                                     // 000000006A38: 7EBA415D
	v_mfma_f32_32x32x16_bf16 v[32:47], v[224:227], v[176:179], v[32:47]// 000000006A3C: D3B70020 048361E0
	v_exp_f32_e32 v94, v94                                     // 000000006A44: 7EBC415E
	v_exp_f32_e32 v95, v95                                     // 000000006A48: 7EBE415F
	v_mul_f32_e32 v18, v16, v18                                // 000000006A4C: 0A242510
	v_add_f32_e32 v19, v65, v64                                // 000000006A50: 02268141
	v_mfma_f32_32x32x16_bf16 v[32:47], v[228:231], v[180:183], v[32:47]// 000000006A54: D3B70020 048369E4
	v_add_f32_e32 v19, v66, v19                                // 000000006A5C: 02262742
	v_add_f32_e32 v19, v67, v19                                // 000000006A60: 02262743
	v_add_f32_e32 v19, v68, v19                                // 000000006A64: 02262744
	v_add_f32_e32 v19, v69, v19                                // 000000006A68: 02262745
	v_add_f32_e32 v19, v70, v19                                // 000000006A6C: 02262746
	v_add_f32_e32 v19, v71, v19                                // 000000006A70: 02262747
	v_mfma_f32_32x32x16_bf16 v[32:47], v[232:235], v[184:187], v[32:47]// 000000006A74: D3B70020 048371E8
	v_add_f32_e32 v19, v72, v19                                // 000000006A7C: 02262748
	v_add_f32_e32 v19, v73, v19                                // 000000006A80: 02262749
	v_add_f32_e32 v19, v74, v19                                // 000000006A84: 0226274A
	v_add_f32_e32 v19, v75, v19                                // 000000006A88: 0226274B
	v_add_f32_e32 v19, v76, v19                                // 000000006A8C: 0226274C
	v_add_f32_e32 v19, v77, v19                                // 000000006A90: 0226274D
	v_mfma_f32_32x32x16_bf16 v[32:47], v[236:239], v[188:191], v[32:47]// 000000006A94: D3B70020 048379EC
	v_add_f32_e32 v19, v78, v19                                // 000000006A9C: 0226274E
	v_add_f32_e32 v19, v79, v19                                // 000000006AA0: 0226274F
	v_add_f32_e32 v19, v80, v19                                // 000000006AA4: 02262750
	v_add_f32_e32 v19, v81, v19                                // 000000006AA8: 02262751
	v_add_f32_e32 v19, v82, v19                                // 000000006AAC: 02262752
	v_add_f32_e32 v19, v83, v19                                // 000000006AB0: 02262753
	v_mfma_f32_32x32x16_bf16 v[48:63], v[208:211], v[160:163], 0// 000000006AB4: D3B70030 020341D0
	v_add_f32_e32 v19, v84, v19                                // 000000006ABC: 02262754
	v_add_f32_e32 v19, v85, v19                                // 000000006AC0: 02262755
	v_add_f32_e32 v19, v86, v19                                // 000000006AC4: 02262756
	v_add_f32_e32 v19, v87, v19                                // 000000006AC8: 02262757
	v_add_f32_e32 v19, v88, v19                                // 000000006ACC: 02262758
	v_add_f32_e32 v19, v89, v19                                // 000000006AD0: 02262759
	v_mfma_f32_32x32x16_bf16 v[48:63], v[212:215], v[164:167], v[48:63]// 000000006AD4: D3B70030 04C349D4
	v_add_f32_e32 v19, v90, v19                                // 000000006ADC: 0226275A
	v_add_f32_e32 v19, v91, v19                                // 000000006AE0: 0226275B
	v_add_f32_e32 v19, v92, v19                                // 000000006AE4: 0226275C
	v_add_f32_e32 v19, v93, v19                                // 000000006AE8: 0226275D
	v_add_f32_e32 v19, v94, v19                                // 000000006AEC: 0226275E
	v_add_f32_e32 v19, v95, v19                                // 000000006AF0: 0226275F
	v_mfma_f32_32x32x16_bf16 v[48:63], v[216:219], v[168:171], v[48:63]// 000000006AF4: D3B70030 04C351D8
	v_mov_b32_e32 v20, v19                                     // 000000006AFC: 7E280313
	v_mul_f32_e32 v96, v16, v96                                // 000000006B00: 0AC0C110
	v_mul_f32_e32 v97, v16, v97                                // 000000006B04: 0AC2C310
	v_permlane32_swap_b32_e32 v20, v19                         // 000000006B08: 7E28B513
	v_add_f32_e32 v20, v20, v19                                // 000000006B0C: 02282714
	v_mfma_f32_32x32x16_bf16 v[48:63], v[220:223], v[172:175], v[48:63]// 000000006B10: D3B70030 04C359DC
	v_add_f32_e32 v18, v20, v18                                // 000000006B18: 02242514
	v_mul_f32_e32 v98, v16, v98                                // 000000006B1C: 0AC4C510
	v_mul_f32_e32 v99, v16, v99                                // 000000006B20: 0AC6C710
	v_mul_f32_e32 v100, v16, v100                              // 000000006B24: 0AC8C910
	v_mul_f32_e32 v101, v16, v101                              // 000000006B28: 0ACACB10
	v_mul_f32_e32 v102, v16, v102                              // 000000006B2C: 0ACCCD10
	v_mfma_f32_32x32x16_bf16 v[48:63], v[240:243], v[176:179], v[48:63]// 000000006B30: D3B70030 04C361F0
	v_mul_f32_e32 v103, v16, v103                              // 000000006B38: 0ACECF10
	v_mul_f32_e32 v104, v16, v104                              // 000000006B3C: 0AD0D110
	v_mul_f32_e32 v105, v16, v105                              // 000000006B40: 0AD2D310
	v_mul_f32_e32 v106, v16, v106                              // 000000006B44: 0AD4D510
	v_mul_f32_e32 v107, v16, v107                              // 000000006B48: 0AD6D710
	v_mul_f32_e32 v108, v16, v108                              // 000000006B4C: 0AD8D910
	v_mfma_f32_32x32x16_bf16 v[48:63], v[244:247], v[180:183], v[48:63]// 000000006B50: D3B70030 04C369F4
	v_mul_f32_e32 v109, v16, v109                              // 000000006B58: 0ADADB10
	v_cvt_pk_bf16_f32 v64, v64, v65                            // 000000006B5C: D2680040 00028340
	v_cvt_pk_bf16_f32 v65, v66, v67                            // 000000006B64: D2680041 00028742
	v_cvt_pk_bf16_f32 v66, v68, v69                            // 000000006B6C: D2680042 00028B44
	v_cvt_pk_bf16_f32 v67, v70, v71                            // 000000006B74: D2680043 00028F46
	v_cvt_pk_bf16_f32 v68, v72, v73                            // 000000006B7C: D2680044 00029348
	v_mfma_f32_32x32x16_bf16 v[48:63], v[248:251], v[184:187], v[48:63]// 000000006B84: D3B70030 04C371F8
	v_cvt_pk_bf16_f32 v69, v74, v75                            // 000000006B8C: D2680045 0002974A
	v_cvt_pk_bf16_f32 v70, v76, v77                            // 000000006B94: D2680046 00029B4C
	v_cvt_pk_bf16_f32 v71, v78, v79                            // 000000006B9C: D2680047 00029F4E
	v_cvt_pk_bf16_f32 v72, v80, v81                            // 000000006BA4: D2680048 0002A350
	v_cvt_pk_bf16_f32 v73, v82, v83                            // 000000006BAC: D2680049 0002A752
	v_cvt_pk_bf16_f32 v74, v84, v85                            // 000000006BB4: D268004A 0002AB54
	v_mfma_f32_32x32x16_bf16 v[48:63], v[252:255], v[188:191], v[48:63]// 000000006BBC: D3B70030 04C379FC
	v_cvt_pk_bf16_f32 v75, v86, v87                            // 000000006BC4: D268004B 0002AF56
	v_cvt_pk_bf16_f32 v76, v88, v89                            // 000000006BCC: D268004C 0002B358
	v_cvt_pk_bf16_f32 v77, v90, v91                            // 000000006BD4: D268004D 0002B75A
	v_cvt_pk_bf16_f32 v78, v92, v93                            // 000000006BDC: D268004E 0002BB5C
	v_cvt_pk_bf16_f32 v79, v94, v95                            // 000000006BE4: D268004F 0002BF5E
	s_barrier                                                  // 000000006BEC: BF8A0000
	s_cmp_lt_i32 s52, s51                                      // 000000006BF0: BF043334
	s_cbranch_scc1 label_0F4A                                  // 000000006BF4: BF85010C
	s_sub_i32 s40, s51, s52                                    // 000000006BF8: 81A83433
	s_sub_i32 s41, s7, s30                                     // 000000006BFC: 81A91E07
	s_and_b32 s41, s41, 63                                     // 000000006C00: 8629BF29
	s_add_i32 s40, s40, s41                                    // 000000006C04: 81282928
	v_add_i32 v12, v25, s40                                    // 000000006C08: D29C000C 00005119
	s_nop 0                                                    // 000000006C10: BF800000
	v_cmp_lt_i32_e64 s[68:69], v12, 0                          // 000000006C14: D0C10044 0001010C
	v_cmp_lt_i32_e64 s[70:71], v12, 1                          // 000000006C1C: D0C10046 0001030C
	v_cndmask_b32_e64 v32, v32, v27, s[68:69]                  // 000000006C24: D1000020 01123720
	v_cndmask_b32_e64 v33, v33, v27, s[70:71]                  // 000000006C2C: D1000021 011A3721
	v_cmp_lt_i32_e64 s[68:69], v12, 2                          // 000000006C34: D0C10044 0001050C
	v_cmp_lt_i32_e64 s[70:71], v12, 3                          // 000000006C3C: D0C10046 0001070C
	v_cndmask_b32_e64 v34, v34, v27, s[68:69]                  // 000000006C44: D1000022 01123722
	v_cndmask_b32_e64 v35, v35, v27, s[70:71]                  // 000000006C4C: D1000023 011A3723
	v_cmp_lt_i32_e64 s[68:69], v12, 8                          // 000000006C54: D0C10044 0001110C
	v_cmp_lt_i32_e64 s[70:71], v12, 9                          // 000000006C5C: D0C10046 0001130C
	v_cndmask_b32_e64 v36, v36, v27, s[68:69]                  // 000000006C64: D1000024 01123724
	v_cndmask_b32_e64 v37, v37, v27, s[70:71]                  // 000000006C6C: D1000025 011A3725
	v_cmp_lt_i32_e64 s[68:69], v12, 10                         // 000000006C74: D0C10044 0001150C
	v_cmp_lt_i32_e64 s[70:71], v12, 11                         // 000000006C7C: D0C10046 0001170C
	v_cndmask_b32_e64 v38, v38, v27, s[68:69]                  // 000000006C84: D1000026 01123726
	v_cndmask_b32_e64 v39, v39, v27, s[70:71]                  // 000000006C8C: D1000027 011A3727
	v_cmp_lt_i32_e64 s[68:69], v12, 16                         // 000000006C94: D0C10044 0001210C
	v_cmp_lt_i32_e64 s[70:71], v12, 17                         // 000000006C9C: D0C10046 0001230C
	v_cndmask_b32_e64 v40, v40, v27, s[68:69]                  // 000000006CA4: D1000028 01123728
	v_cndmask_b32_e64 v41, v41, v27, s[70:71]                  // 000000006CAC: D1000029 011A3729
	v_cmp_lt_i32_e64 s[68:69], v12, 18                         // 000000006CB4: D0C10044 0001250C
	v_cmp_lt_i32_e64 s[70:71], v12, 19                         // 000000006CBC: D0C10046 0001270C
	v_cndmask_b32_e64 v42, v42, v27, s[68:69]                  // 000000006CC4: D100002A 0112372A
	v_cndmask_b32_e64 v43, v43, v27, s[70:71]                  // 000000006CCC: D100002B 011A372B
	v_cmp_lt_i32_e64 s[68:69], v12, 24                         // 000000006CD4: D0C10044 0001310C
	v_cmp_lt_i32_e64 s[70:71], v12, 25                         // 000000006CDC: D0C10046 0001330C
	v_cndmask_b32_e64 v44, v44, v27, s[68:69]                  // 000000006CE4: D100002C 0112372C
	v_cndmask_b32_e64 v45, v45, v27, s[70:71]                  // 000000006CEC: D100002D 011A372D
	v_cmp_lt_i32_e64 s[68:69], v12, 26                         // 000000006CF4: D0C10044 0001350C
	v_cmp_lt_i32_e64 s[70:71], v12, 27                         // 000000006CFC: D0C10046 0001370C
	v_cndmask_b32_e64 v46, v46, v27, s[68:69]                  // 000000006D04: D100002E 0112372E
	v_cndmask_b32_e64 v47, v47, v27, s[70:71]                  // 000000006D0C: D100002F 011A372F
	v_cmp_lt_i32_e64 s[68:69], v12, 32                         // 000000006D14: D0C10044 0001410C
	v_cmp_lt_i32_e64 s[70:71], v12, 33                         // 000000006D1C: D0C10046 0001430C
	v_cndmask_b32_e64 v48, v48, v27, s[68:69]                  // 000000006D24: D1000030 01123730
	v_cndmask_b32_e64 v49, v49, v27, s[70:71]                  // 000000006D2C: D1000031 011A3731
	v_cmp_lt_i32_e64 s[68:69], v12, 34                         // 000000006D34: D0C10044 0001450C
	v_cmp_lt_i32_e64 s[70:71], v12, 35                         // 000000006D3C: D0C10046 0001470C
	v_cndmask_b32_e64 v50, v50, v27, s[68:69]                  // 000000006D44: D1000032 01123732
	v_cndmask_b32_e64 v51, v51, v27, s[70:71]                  // 000000006D4C: D1000033 011A3733
	v_cmp_lt_i32_e64 s[68:69], v12, 40                         // 000000006D54: D0C10044 0001510C
	v_cmp_lt_i32_e64 s[70:71], v12, 41                         // 000000006D5C: D0C10046 0001530C
	v_cndmask_b32_e64 v52, v52, v27, s[68:69]                  // 000000006D64: D1000034 01123734
	v_cndmask_b32_e64 v53, v53, v27, s[70:71]                  // 000000006D6C: D1000035 011A3735
	v_cmp_lt_i32_e64 s[68:69], v12, 42                         // 000000006D74: D0C10044 0001550C
	v_cmp_lt_i32_e64 s[70:71], v12, 43                         // 000000006D7C: D0C10046 0001570C
	v_cndmask_b32_e64 v54, v54, v27, s[68:69]                  // 000000006D84: D1000036 01123736
	v_cndmask_b32_e64 v55, v55, v27, s[70:71]                  // 000000006D8C: D1000037 011A3737
	v_cmp_lt_i32_e64 s[68:69], v12, 48                         // 000000006D94: D0C10044 0001610C
	v_cmp_lt_i32_e64 s[70:71], v12, 49                         // 000000006D9C: D0C10046 0001630C
	v_cndmask_b32_e64 v56, v56, v27, s[68:69]                  // 000000006DA4: D1000038 01123738
	v_cndmask_b32_e64 v57, v57, v27, s[70:71]                  // 000000006DAC: D1000039 011A3739
	v_cmp_lt_i32_e64 s[68:69], v12, 50                         // 000000006DB4: D0C10044 0001650C
	v_cmp_lt_i32_e64 s[70:71], v12, 51                         // 000000006DBC: D0C10046 0001670C
	v_cndmask_b32_e64 v58, v58, v27, s[68:69]                  // 000000006DC4: D100003A 0112373A
	v_cndmask_b32_e64 v59, v59, v27, s[70:71]                  // 000000006DCC: D100003B 011A373B
	v_cmp_lt_i32_e64 s[68:69], v12, 56                         // 000000006DD4: D0C10044 0001710C
	v_cmp_lt_i32_e64 s[70:71], v12, 57                         // 000000006DDC: D0C10046 0001730C
	v_cndmask_b32_e64 v60, v60, v27, s[68:69]                  // 000000006DE4: D100003C 0112373C
	v_cndmask_b32_e64 v61, v61, v27, s[70:71]                  // 000000006DEC: D100003D 011A373D
	v_cmp_lt_i32_e64 s[68:69], v12, 58                         // 000000006DF4: D0C10044 0001750C
	v_cmp_lt_i32_e64 s[70:71], v12, 59                         // 000000006DFC: D0C10046 0001770C
	v_cndmask_b32_e64 v62, v62, v27, s[68:69]                  // 000000006E04: D100003E 0112373E
	v_cndmask_b32_e64 v63, v63, v27, s[70:71]                  // 000000006E0C: D100003F 011A373F
	s_cmp_lt_i32 s52, s54                                      // 000000006E14: BF043634
	s_cbranch_scc1 label_0F4A                                  // 000000006E18: BF850083
	s_sub_i32 s40, s7, s52                                     // 000000006E1C: 81A83407
	v_sub_i32 v12, s40, v26                                    // 000000006E20: D29D000C 00023428
	v_cmp_lt_i32_e64 s[68:69], 0, v12                          // 000000006E28: D0C10044 00021880
	v_cmp_lt_i32_e64 s[70:71], 1, v12                          // 000000006E30: D0C10046 00021881
	v_cndmask_b32_e64 v32, v27, v32, s[68:69]                  // 000000006E38: D1000020 0112411B
	v_cndmask_b32_e64 v33, v27, v33, s[70:71]                  // 000000006E40: D1000021 011A431B
	v_cmp_lt_i32_e64 s[68:69], 2, v12                          // 000000006E48: D0C10044 00021882
	v_cmp_lt_i32_e64 s[70:71], 3, v12                          // 000000006E50: D0C10046 00021883
	v_cndmask_b32_e64 v34, v27, v34, s[68:69]                  // 000000006E58: D1000022 0112451B
	v_cndmask_b32_e64 v35, v27, v35, s[70:71]                  // 000000006E60: D1000023 011A471B
	v_cmp_lt_i32_e64 s[68:69], 8, v12                          // 000000006E68: D0C10044 00021888
	v_cmp_lt_i32_e64 s[70:71], 9, v12                          // 000000006E70: D0C10046 00021889
	v_cndmask_b32_e64 v36, v27, v36, s[68:69]                  // 000000006E78: D1000024 0112491B
	v_cndmask_b32_e64 v37, v27, v37, s[70:71]                  // 000000006E80: D1000025 011A4B1B
	v_cmp_lt_i32_e64 s[68:69], 10, v12                         // 000000006E88: D0C10044 0002188A
	v_cmp_lt_i32_e64 s[70:71], 11, v12                         // 000000006E90: D0C10046 0002188B
	v_cndmask_b32_e64 v38, v27, v38, s[68:69]                  // 000000006E98: D1000026 01124D1B
	v_cndmask_b32_e64 v39, v27, v39, s[70:71]                  // 000000006EA0: D1000027 011A4F1B
	v_cmp_lt_i32_e64 s[68:69], 16, v12                         // 000000006EA8: D0C10044 00021890
	v_cmp_lt_i32_e64 s[70:71], 17, v12                         // 000000006EB0: D0C10046 00021891
	v_cndmask_b32_e64 v40, v27, v40, s[68:69]                  // 000000006EB8: D1000028 0112511B
	v_cndmask_b32_e64 v41, v27, v41, s[70:71]                  // 000000006EC0: D1000029 011A531B
	v_cmp_lt_i32_e64 s[68:69], 18, v12                         // 000000006EC8: D0C10044 00021892
	v_cmp_lt_i32_e64 s[70:71], 19, v12                         // 000000006ED0: D0C10046 00021893
	v_cndmask_b32_e64 v42, v27, v42, s[68:69]                  // 000000006ED8: D100002A 0112551B
	v_cndmask_b32_e64 v43, v27, v43, s[70:71]                  // 000000006EE0: D100002B 011A571B
	v_cmp_lt_i32_e64 s[68:69], 24, v12                         // 000000006EE8: D0C10044 00021898
	v_cmp_lt_i32_e64 s[70:71], 25, v12                         // 000000006EF0: D0C10046 00021899
	v_cndmask_b32_e64 v44, v27, v44, s[68:69]                  // 000000006EF8: D100002C 0112591B
	v_cndmask_b32_e64 v45, v27, v45, s[70:71]                  // 000000006F00: D100002D 011A5B1B
	v_cmp_lt_i32_e64 s[68:69], 26, v12                         // 000000006F08: D0C10044 0002189A
	v_cmp_lt_i32_e64 s[70:71], 27, v12                         // 000000006F10: D0C10046 0002189B
	v_cndmask_b32_e64 v46, v27, v46, s[68:69]                  // 000000006F18: D100002E 01125D1B
	v_cndmask_b32_e64 v47, v27, v47, s[70:71]                  // 000000006F20: D100002F 011A5F1B
	v_cmp_lt_i32_e64 s[68:69], 32, v12                         // 000000006F28: D0C10044 000218A0
	v_cmp_lt_i32_e64 s[70:71], 33, v12                         // 000000006F30: D0C10046 000218A1
	v_cndmask_b32_e64 v48, v27, v48, s[68:69]                  // 000000006F38: D1000030 0112611B
	v_cndmask_b32_e64 v49, v27, v49, s[70:71]                  // 000000006F40: D1000031 011A631B
	v_cmp_lt_i32_e64 s[68:69], 34, v12                         // 000000006F48: D0C10044 000218A2
	v_cmp_lt_i32_e64 s[70:71], 35, v12                         // 000000006F50: D0C10046 000218A3
	v_cndmask_b32_e64 v50, v27, v50, s[68:69]                  // 000000006F58: D1000032 0112651B
	v_cndmask_b32_e64 v51, v27, v51, s[70:71]                  // 000000006F60: D1000033 011A671B
	v_cmp_lt_i32_e64 s[68:69], 40, v12                         // 000000006F68: D0C10044 000218A8
	v_cmp_lt_i32_e64 s[70:71], 41, v12                         // 000000006F70: D0C10046 000218A9
	v_cndmask_b32_e64 v52, v27, v52, s[68:69]                  // 000000006F78: D1000034 0112691B
	v_cndmask_b32_e64 v53, v27, v53, s[70:71]                  // 000000006F80: D1000035 011A6B1B
	v_cmp_lt_i32_e64 s[68:69], 42, v12                         // 000000006F88: D0C10044 000218AA
	v_cmp_lt_i32_e64 s[70:71], 43, v12                         // 000000006F90: D0C10046 000218AB
	v_cndmask_b32_e64 v54, v27, v54, s[68:69]                  // 000000006F98: D1000036 01126D1B
	v_cndmask_b32_e64 v55, v27, v55, s[70:71]                  // 000000006FA0: D1000037 011A6F1B
	v_cmp_lt_i32_e64 s[68:69], 48, v12                         // 000000006FA8: D0C10044 000218B0
	v_cmp_lt_i32_e64 s[70:71], 49, v12                         // 000000006FB0: D0C10046 000218B1
	v_cndmask_b32_e64 v56, v27, v56, s[68:69]                  // 000000006FB8: D1000038 0112711B
	v_cndmask_b32_e64 v57, v27, v57, s[70:71]                  // 000000006FC0: D1000039 011A731B
	v_cmp_lt_i32_e64 s[68:69], 50, v12                         // 000000006FC8: D0C10044 000218B2
	v_cmp_lt_i32_e64 s[70:71], 51, v12                         // 000000006FD0: D0C10046 000218B3
	v_cndmask_b32_e64 v58, v27, v58, s[68:69]                  // 000000006FD8: D100003A 0112751B
	v_cndmask_b32_e64 v59, v27, v59, s[70:71]                  // 000000006FE0: D100003B 011A771B
	v_cmp_lt_i32_e64 s[68:69], 56, v12                         // 000000006FE8: D0C10044 000218B8
	v_cmp_lt_i32_e64 s[70:71], 57, v12                         // 000000006FF0: D0C10046 000218B9
	v_cndmask_b32_e64 v60, v27, v60, s[68:69]                  // 000000006FF8: D100003C 0112791B
	v_cndmask_b32_e64 v61, v27, v61, s[70:71]                  // 000000007000: D100003D 011A7B1B
	v_cmp_lt_i32_e64 s[68:69], 58, v12                         // 000000007008: D0C10044 000218BA
	v_cmp_lt_i32_e64 s[70:71], 59, v12                         // 000000007010: D0C10046 000218BB
	v_cndmask_b32_e64 v62, v27, v62, s[68:69]                  // 000000007018: D100003E 01127D1B
	v_cndmask_b32_e64 v63, v27, v63, s[70:71]                  // 000000007020: D100003F 011A7F1B

0000000000007028 <label_0F4A>:
	s_nop 0                                                    // 000000007028: BF800000
	s_mov_b32 m0, s64                                          // 00000000702C: BEFC0040
	buffer_load_dwordx4 v4, s[12:15], s34 offen lds            // 000000007030: E05D1000 22030004
	s_add_u32 m0, 0x2080, m0                                   // 000000007038: 807C7CFF 00002080
	buffer_load_dwordx4 v5, s[12:15], s34 offen lds            // 000000007040: E05D1000 22030005
	s_add_u32 m0, 0x2080, m0                                   // 000000007048: 807C7CFF 00002080
	s_add_i32 s34, s43, s34                                    // 000000007050: 8122222B
	s_nop 0                                                    // 000000007054: BF800000
	s_add_u32 s40, 0x100, s39                                  // 000000007058: 802827FF 00000100
	s_nop 0                                                    // 000000007060: BF800000
	s_cmp_lt_u32 s40, s38                                      // 000000007064: BF0A2628
	s_cselect_b32 s43, s43, 0                                  // 000000007068: 852B802B
	s_nop 15                                                   // 00000000706C: BF80000F
	s_nop 8                                                    // 000000007070: BF800008
	s_nop 7                                                    // 000000007074: BF800007
	ds_read_b64_tr_b16 v[192:193], v11                         // 000000007078: D9C60000 C000000B
	ds_read_b64_tr_b16 v[194:195], v11 offset:512              // 000000007080: D9C60200 C200000B
	ds_read_b64_tr_b16 v[208:209], v11 offset:64               // 000000007088: D9C60040 D000000B
	ds_read_b64_tr_b16 v[210:211], v11 offset:576              // 000000007090: D9C60240 D200000B
	ds_read_b64_tr_b16 v[196:197], v11 offset:2176             // 000000007098: D9C60880 C400000B
	ds_read_b64_tr_b16 v[198:199], v11 offset:2688             // 0000000070A0: D9C60A80 C600000B
	ds_read_b64_tr_b16 v[212:213], v11 offset:2240             // 0000000070A8: D9C608C0 D400000B
	ds_read_b64_tr_b16 v[214:215], v11 offset:2752             // 0000000070B0: D9C60AC0 D600000B
	ds_read_b64_tr_b16 v[200:201], v11 offset:4352             // 0000000070B8: D9C61100 C800000B
	ds_read_b64_tr_b16 v[202:203], v11 offset:4864             // 0000000070C0: D9C61300 CA00000B
	ds_read_b64_tr_b16 v[216:217], v11 offset:4416             // 0000000070C8: D9C61140 D800000B
	ds_read_b64_tr_b16 v[218:219], v11 offset:4928             // 0000000070D0: D9C61340 DA00000B
	ds_read_b64_tr_b16 v[204:205], v11 offset:6528             // 0000000070D8: D9C61980 CC00000B
	ds_read_b64_tr_b16 v[206:207], v11 offset:7040             // 0000000070E0: D9C61B80 CE00000B
	ds_read_b64_tr_b16 v[220:221], v11 offset:6592             // 0000000070E8: D9C619C0 DC00000B
	ds_read_b64_tr_b16 v[222:223], v11 offset:7104             // 0000000070F0: D9C61BC0 DE00000B
	ds_read_b64_tr_b16 v[224:225], v11 offset:8704             // 0000000070F8: D9C62200 E000000B
	ds_read_b64_tr_b16 v[226:227], v11 offset:9216             // 000000007100: D9C62400 E200000B
	ds_read_b64_tr_b16 v[240:241], v11 offset:8768             // 000000007108: D9C62240 F000000B
	ds_read_b64_tr_b16 v[242:243], v11 offset:9280             // 000000007110: D9C62440 F200000B
	ds_read_b64_tr_b16 v[228:229], v11 offset:10880            // 000000007118: D9C62A80 E400000B
	ds_read_b64_tr_b16 v[230:231], v11 offset:11392            // 000000007120: D9C62C80 E600000B
	ds_read_b64_tr_b16 v[244:245], v11 offset:10944            // 000000007128: D9C62AC0 F400000B
	ds_read_b64_tr_b16 v[246:247], v11 offset:11456            // 000000007130: D9C62CC0 F600000B
	ds_read_b64_tr_b16 v[232:233], v11 offset:13056            // 000000007138: D9C63300 E800000B
	ds_read_b64_tr_b16 v[234:235], v11 offset:13568            // 000000007140: D9C63500 EA00000B
	ds_read_b64_tr_b16 v[248:249], v11 offset:13120            // 000000007148: D9C63340 F800000B
	ds_read_b64_tr_b16 v[250:251], v11 offset:13632            // 000000007150: D9C63540 FA00000B
	ds_read_b64_tr_b16 v[236:237], v11 offset:15232            // 000000007158: D9C63B80 EC00000B
	ds_read_b64_tr_b16 v[238:239], v11 offset:15744            // 000000007160: D9C63D80 EE00000B
	ds_read_b64_tr_b16 v[252:253], v11 offset:15296            // 000000007168: D9C63BC0 FC00000B
	ds_read_b64_tr_b16 v[254:255], v11 offset:15808            // 000000007170: D9C63DC0 FE00000B
	s_add_i32 s52, s52, s53                                    // 000000007178: 81343534
	s_addk_i32 s39, 0x40                                       // 00000000717C: B7270040
	s_cmp_lt_i32 s39, s38                                      // 000000007180: BF042627
	s_waitcnt vmcnt(4) lgkmcnt(0)                              // 000000007184: BF8C0074
	s_barrier                                                  // 000000007188: BF8A0000
	v_mfma_f32_32x32x16_bf16 v[96:111], v[192:195], v[64:67], v[96:111]// 00000000718C: D3B70060 058281C0
	v_mov_b32_e32 v21, v24                                     // 000000007194: 7E2A0318
	v_max3_f32 v21, v32, v33, v21                              // 000000007198: D1D30015 04564320
	v_max3_f32 v21, v34, v35, v21                              // 0000000071A0: D1D30015 04564722
	v_max3_f32 v21, v36, v37, v21                              // 0000000071A8: D1D30015 04564B24
	v_max3_f32 v21, v38, v39, v21                              // 0000000071B0: D1D30015 04564F26
	v_max3_f32 v21, v40, v41, v21                              // 0000000071B8: D1D30015 04565328
	v_mfma_f32_32x32x16_bf16 v[96:111], v[196:199], v[68:71], v[96:111]// 0000000071C0: D3B70060 058289C4
	v_max3_f32 v21, v42, v43, v21                              // 0000000071C8: D1D30015 0456572A
	v_max3_f32 v21, v44, v45, v21                              // 0000000071D0: D1D30015 04565B2C
	v_max3_f32 v21, v46, v47, v21                              // 0000000071D8: D1D30015 04565F2E
	v_max3_f32 v21, v48, v49, v21                              // 0000000071E0: D1D30015 04566330
	v_max3_f32 v21, v50, v51, v21                              // 0000000071E8: D1D30015 04566732
	v_max3_f32 v21, v52, v53, v21                              // 0000000071F0: D1D30015 04566B34
	v_mfma_f32_32x32x16_bf16 v[96:111], v[200:203], v[72:75], v[96:111]// 0000000071F8: D3B70060 058291C8
	v_max3_f32 v21, v54, v55, v21                              // 000000007200: D1D30015 04566F36
	v_max3_f32 v21, v56, v57, v21                              // 000000007208: D1D30015 04567338
	v_max3_f32 v21, v58, v59, v21                              // 000000007210: D1D30015 0456773A
	v_max3_f32 v21, v60, v61, v21                              // 000000007218: D1D30015 04567B3C
	v_max3_f32 v21, v62, v63, v21                              // 000000007220: D1D30015 04567F3E
	v_mov_b32_e32 v20, v21                                     // 000000007228: 7E280315
	v_mfma_f32_32x32x16_bf16 v[96:111], v[204:207], v[76:79], v[96:111]// 00000000722C: D3B70060 058299CC
	v_nop                                                      // 000000007234: 7E000000
	v_nop                                                      // 000000007238: 7E000000
	v_permlane32_swap_b32_e32 v20, v21                         // 00000000723C: 7E28B515
	v_max_f32_e32 v21, v20, v21                                // 000000007240: 162A2B14
	v_sub_f32_e32 v16, v24, v21                                // 000000007244: 04202B18
	v_mfma_f32_32x32x16_bf16 v[112:127], v[208:211], v[64:67], v[112:127]// 000000007248: D3B70070 05C281D0
	v_mov_b32_e32 v24, v21                                     // 000000007250: 7E300315
	v_mul_f32_e32 v23, s37, v21                                // 000000007254: 0A2E2A25
	v_mul_f32_e32 v16, s37, v16                                // 000000007258: 0A202025
	v_exp_f32_e32 v16, v16                                     // 00000000725C: 7E204110
	v_fma_f32 v32, v32, s37, -v23                              // 000000007260: D1CB0020 845C4B20
	v_mfma_f32_32x32x16_bf16 v[112:127], v[212:215], v[68:71], v[112:127]// 000000007268: D3B70070 05C289D4
	v_fma_f32 v33, v33, s37, -v23                              // 000000007270: D1CB0021 845C4B21
	v_fma_f32 v34, v34, s37, -v23                              // 000000007278: D1CB0022 845C4B22
	v_fma_f32 v35, v35, s37, -v23                              // 000000007280: D1CB0023 845C4B23
	v_fma_f32 v36, v36, s37, -v23                              // 000000007288: D1CB0024 845C4B24
	v_fma_f32 v37, v37, s37, -v23                              // 000000007290: D1CB0025 845C4B25
	v_fma_f32 v38, v38, s37, -v23                              // 000000007298: D1CB0026 845C4B26
	v_mfma_f32_32x32x16_bf16 v[112:127], v[216:219], v[72:75], v[112:127]// 0000000072A0: D3B70070 05C291D8
	v_fma_f32 v39, v39, s37, -v23                              // 0000000072A8: D1CB0027 845C4B27
	v_fma_f32 v40, v40, s37, -v23                              // 0000000072B0: D1CB0028 845C4B28
	v_fma_f32 v41, v41, s37, -v23                              // 0000000072B8: D1CB0029 845C4B29
	v_fma_f32 v42, v42, s37, -v23                              // 0000000072C0: D1CB002A 845C4B2A
	v_fma_f32 v43, v43, s37, -v23                              // 0000000072C8: D1CB002B 845C4B2B
	v_fma_f32 v44, v44, s37, -v23                              // 0000000072D0: D1CB002C 845C4B2C
	v_mfma_f32_32x32x16_bf16 v[112:127], v[220:223], v[76:79], v[112:127]// 0000000072D8: D3B70070 05C299DC
	v_fma_f32 v45, v45, s37, -v23                              // 0000000072E0: D1CB002D 845C4B2D
	v_fma_f32 v46, v46, s37, -v23                              // 0000000072E8: D1CB002E 845C4B2E
	v_fma_f32 v47, v47, s37, -v23                              // 0000000072F0: D1CB002F 845C4B2F
	v_fma_f32 v48, v48, s37, -v23                              // 0000000072F8: D1CB0030 845C4B30
	v_fma_f32 v49, v49, s37, -v23                              // 000000007300: D1CB0031 845C4B31
	v_fma_f32 v50, v50, s37, -v23                              // 000000007308: D1CB0032 845C4B32
	v_mfma_f32_32x32x16_bf16 v[128:143], v[224:227], v[64:67], v[128:143]// 000000007310: D3B70080 060281E0
	v_fma_f32 v51, v51, s37, -v23                              // 000000007318: D1CB0033 845C4B33
	v_fma_f32 v52, v52, s37, -v23                              // 000000007320: D1CB0034 845C4B34
	v_fma_f32 v53, v53, s37, -v23                              // 000000007328: D1CB0035 845C4B35
	v_fma_f32 v54, v54, s37, -v23                              // 000000007330: D1CB0036 845C4B36
	v_fma_f32 v55, v55, s37, -v23                              // 000000007338: D1CB0037 845C4B37
	v_fma_f32 v56, v56, s37, -v23                              // 000000007340: D1CB0038 845C4B38
	v_mfma_f32_32x32x16_bf16 v[128:143], v[228:231], v[68:71], v[128:143]// 000000007348: D3B70080 060289E4
	v_fma_f32 v57, v57, s37, -v23                              // 000000007350: D1CB0039 845C4B39
	v_fma_f32 v58, v58, s37, -v23                              // 000000007358: D1CB003A 845C4B3A
	v_fma_f32 v59, v59, s37, -v23                              // 000000007360: D1CB003B 845C4B3B
	v_fma_f32 v60, v60, s37, -v23                              // 000000007368: D1CB003C 845C4B3C
	v_fma_f32 v61, v61, s37, -v23                              // 000000007370: D1CB003D 845C4B3D
	v_fma_f32 v62, v62, s37, -v23                              // 000000007378: D1CB003E 845C4B3E
	v_mfma_f32_32x32x16_bf16 v[128:143], v[232:235], v[72:75], v[128:143]// 000000007380: D3B70080 060291E8
	v_fma_f32 v63, v63, s37, -v23                              // 000000007388: D1CB003F 845C4B3F
	v_exp_f32_e32 v32, v32                                     // 000000007390: 7E404120
	v_exp_f32_e32 v33, v33                                     // 000000007394: 7E424121
	v_exp_f32_e32 v34, v34                                     // 000000007398: 7E444122
	v_mfma_f32_32x32x16_bf16 v[128:143], v[236:239], v[76:79], v[128:143]// 00000000739C: D3B70080 060299EC
	v_exp_f32_e32 v35, v35                                     // 0000000073A4: 7E464123
	v_exp_f32_e32 v36, v36                                     // 0000000073A8: 7E484124
	v_exp_f32_e32 v37, v37                                     // 0000000073AC: 7E4A4125
	v_mfma_f32_32x32x16_bf16 v[144:159], v[240:243], v[64:67], v[144:159]// 0000000073B0: D3B70090 064281F0
	v_exp_f32_e32 v38, v38                                     // 0000000073B8: 7E4C4126
	v_exp_f32_e32 v39, v39                                     // 0000000073BC: 7E4E4127
	v_exp_f32_e32 v40, v40                                     // 0000000073C0: 7E504128
	v_mfma_f32_32x32x16_bf16 v[144:159], v[244:247], v[68:71], v[144:159]// 0000000073C4: D3B70090 064289F4
	v_exp_f32_e32 v41, v41                                     // 0000000073CC: 7E524129
	v_exp_f32_e32 v42, v42                                     // 0000000073D0: 7E54412A
	v_exp_f32_e32 v43, v43                                     // 0000000073D4: 7E56412B
	v_mfma_f32_32x32x16_bf16 v[144:159], v[248:251], v[72:75], v[144:159]// 0000000073D8: D3B70090 064291F8
	v_exp_f32_e32 v44, v44                                     // 0000000073E0: 7E58412C
	v_exp_f32_e32 v45, v45                                     // 0000000073E4: 7E5A412D
	v_exp_f32_e32 v46, v46                                     // 0000000073E8: 7E5C412E
	v_mfma_f32_32x32x16_bf16 v[144:159], v[252:255], v[76:79], v[144:159]// 0000000073EC: D3B70090 064299FC
	v_exp_f32_e32 v47, v47                                     // 0000000073F4: 7E5E412F
	v_exp_f32_e32 v48, v48                                     // 0000000073F8: 7E604130
	v_exp_f32_e32 v49, v49                                     // 0000000073FC: 7E624131
	v_nop                                                      // 000000007400: 7E000000
	v_mov_b32_e32 v17, v16                                     // 000000007404: 7E220310
	v_mul_f32_e32 v110, v16, v110                              // 000000007408: 0ADCDD10
	v_mul_f32_e32 v111, v16, v111                              // 00000000740C: 0ADEDF10
	v_pk_mul_f32 v[112:113], v[16:17], v[112:113]              // 000000007410: D3B14070 1802E110
	v_pk_mul_f32 v[114:115], v[16:17], v[114:115]              // 000000007418: D3B14072 1802E510
	v_pk_mul_f32 v[116:117], v[16:17], v[116:117]              // 000000007420: D3B14074 1802E910
	v_pk_mul_f32 v[118:119], v[16:17], v[118:119]              // 000000007428: D3B14076 1802ED10
	v_pk_mul_f32 v[120:121], v[16:17], v[120:121]              // 000000007430: D3B14078 1802F110
	v_pk_mul_f32 v[122:123], v[16:17], v[122:123]              // 000000007438: D3B1407A 1802F510
	v_pk_mul_f32 v[124:125], v[16:17], v[124:125]              // 000000007440: D3B1407C 1802F910
	v_pk_mul_f32 v[126:127], v[16:17], v[126:127]              // 000000007448: D3B1407E 1802FD10
	v_pk_mul_f32 v[128:129], v[16:17], v[128:129]              // 000000007450: D3B14080 18030110
	v_pk_mul_f32 v[130:131], v[16:17], v[130:131]              // 000000007458: D3B14082 18030510
	v_pk_mul_f32 v[132:133], v[16:17], v[132:133]              // 000000007460: D3B14084 18030910
	v_pk_mul_f32 v[134:135], v[16:17], v[134:135]              // 000000007468: D3B14086 18030D10
	v_pk_mul_f32 v[136:137], v[16:17], v[136:137]              // 000000007470: D3B14088 18031110
	v_pk_mul_f32 v[138:139], v[16:17], v[138:139]              // 000000007478: D3B1408A 18031510
	v_pk_mul_f32 v[140:141], v[16:17], v[140:141]              // 000000007480: D3B1408C 18031910
	v_pk_mul_f32 v[142:143], v[16:17], v[142:143]              // 000000007488: D3B1408E 18031D10
	v_pk_mul_f32 v[144:145], v[16:17], v[144:145]              // 000000007490: D3B14090 18032110
	v_pk_mul_f32 v[146:147], v[16:17], v[146:147]              // 000000007498: D3B14092 18032510
	v_pk_mul_f32 v[148:149], v[16:17], v[148:149]              // 0000000074A0: D3B14094 18032910
	v_pk_mul_f32 v[150:151], v[16:17], v[150:151]              // 0000000074A8: D3B14096 18032D10
	v_pk_mul_f32 v[152:153], v[16:17], v[152:153]              // 0000000074B0: D3B14098 18033110
	v_pk_mul_f32 v[154:155], v[16:17], v[154:155]              // 0000000074B8: D3B1409A 18033510
	v_pk_mul_f32 v[156:157], v[16:17], v[156:157]              // 0000000074C0: D3B1409C 18033910
	v_pk_mul_f32 v[158:159], v[16:17], v[158:159]              // 0000000074C8: D3B1409E 18033D10
	s_cbranch_scc0 label_1076                                  // 0000000074D0: BF840001
	s_branch label_0A9D                                        // 0000000074D4: BF82FA27

00000000000074d8 <label_1076>:
	s_add_u32 s40, s38, 63                                     // 0000000074D8: 8028BF26
	s_lshr_b32 s40, s40, 6                                     // 0000000074DC: 8F288628
	s_and_b32 s40, 1, s40                                      // 0000000074E0: 86282881
	s_cmp_lt_i32 s40, 1                                        // 0000000074E4: BF048128
	s_cbranch_scc0 label_113F                                  // 0000000074E8: BF8400C4
	s_waitcnt vmcnt(2)                                         // 0000000074EC: BF8C0F72
	s_barrier                                                  // 0000000074F0: BF8A0000
	ds_read_b64_tr_b16 v[192:193], v11                         // 0000000074F4: D9C60000 C000000B
	ds_read_b64_tr_b16 v[194:195], v11 offset:512              // 0000000074FC: D9C60200 C200000B
	ds_read_b64_tr_b16 v[208:209], v11 offset:64               // 000000007504: D9C60040 D000000B
	ds_read_b64_tr_b16 v[210:211], v11 offset:576              // 00000000750C: D9C60240 D200000B
	ds_read_b64_tr_b16 v[196:197], v11 offset:2176             // 000000007514: D9C60880 C400000B
	ds_read_b64_tr_b16 v[198:199], v11 offset:2688             // 00000000751C: D9C60A80 C600000B
	ds_read_b64_tr_b16 v[212:213], v11 offset:2240             // 000000007524: D9C608C0 D400000B
	ds_read_b64_tr_b16 v[214:215], v11 offset:2752             // 00000000752C: D9C60AC0 D600000B
	ds_read_b64_tr_b16 v[200:201], v11 offset:4352             // 000000007534: D9C61100 C800000B
	ds_read_b64_tr_b16 v[202:203], v11 offset:4864             // 00000000753C: D9C61300 CA00000B
	ds_read_b64_tr_b16 v[216:217], v11 offset:4416             // 000000007544: D9C61140 D800000B
	ds_read_b64_tr_b16 v[218:219], v11 offset:4928             // 00000000754C: D9C61340 DA00000B
	ds_read_b64_tr_b16 v[204:205], v11 offset:6528             // 000000007554: D9C61980 CC00000B
	ds_read_b64_tr_b16 v[206:207], v11 offset:7040             // 00000000755C: D9C61B80 CE00000B
	ds_read_b64_tr_b16 v[220:221], v11 offset:6592             // 000000007564: D9C619C0 DC00000B
	ds_read_b64_tr_b16 v[222:223], v11 offset:7104             // 00000000756C: D9C61BC0 DE00000B
	ds_read_b64_tr_b16 v[224:225], v11 offset:8704             // 000000007574: D9C62200 E000000B
	ds_read_b64_tr_b16 v[226:227], v11 offset:9216             // 00000000757C: D9C62400 E200000B
	ds_read_b64_tr_b16 v[240:241], v11 offset:8768             // 000000007584: D9C62240 F000000B
	ds_read_b64_tr_b16 v[242:243], v11 offset:9280             // 00000000758C: D9C62440 F200000B
	ds_read_b64_tr_b16 v[228:229], v11 offset:10880            // 000000007594: D9C62A80 E400000B
	ds_read_b64_tr_b16 v[230:231], v11 offset:11392            // 00000000759C: D9C62C80 E600000B
	ds_read_b64_tr_b16 v[244:245], v11 offset:10944            // 0000000075A4: D9C62AC0 F400000B
	ds_read_b64_tr_b16 v[246:247], v11 offset:11456            // 0000000075AC: D9C62CC0 F600000B
	ds_read_b64_tr_b16 v[232:233], v11 offset:13056            // 0000000075B4: D9C63300 E800000B
	ds_read_b64_tr_b16 v[234:235], v11 offset:13568            // 0000000075BC: D9C63500 EA00000B
	ds_read_b64_tr_b16 v[248:249], v11 offset:13120            // 0000000075C4: D9C63340 F800000B
	ds_read_b64_tr_b16 v[250:251], v11 offset:13632            // 0000000075CC: D9C63540 FA00000B
	ds_read_b64_tr_b16 v[236:237], v11 offset:15232            // 0000000075D4: D9C63B80 EC00000B
	ds_read_b64_tr_b16 v[238:239], v11 offset:15744            // 0000000075DC: D9C63D80 EE00000B
	ds_read_b64_tr_b16 v[252:253], v11 offset:15296            // 0000000075E4: D9C63BC0 FC00000B
	ds_read_b64_tr_b16 v[254:255], v11 offset:15808            // 0000000075EC: D9C63DC0 FE00000B
	v_exp_f32_e32 v82, v82                                     // 0000000075F4: 7EA44152
	v_exp_f32_e32 v83, v83                                     // 0000000075F8: 7EA64153
	v_exp_f32_e32 v84, v84                                     // 0000000075FC: 7EA84154
	v_exp_f32_e32 v85, v85                                     // 000000007600: 7EAA4155
	v_exp_f32_e32 v86, v86                                     // 000000007604: 7EAC4156
	v_exp_f32_e32 v87, v87                                     // 000000007608: 7EAE4157
	v_exp_f32_e32 v88, v88                                     // 00000000760C: 7EB04158
	v_exp_f32_e32 v89, v89                                     // 000000007610: 7EB24159
	v_exp_f32_e32 v90, v90                                     // 000000007614: 7EB4415A
	v_exp_f32_e32 v91, v91                                     // 000000007618: 7EB6415B
	v_exp_f32_e32 v92, v92                                     // 00000000761C: 7EB8415C
	v_exp_f32_e32 v93, v93                                     // 000000007620: 7EBA415D
	v_exp_f32_e32 v94, v94                                     // 000000007624: 7EBC415E
	v_exp_f32_e32 v95, v95                                     // 000000007628: 7EBE415F
	v_mul_f32_e32 v18, v16, v18                                // 00000000762C: 0A242510
	v_add_f32_e32 v19, v65, v64                                // 000000007630: 02268141
	v_add_f32_e32 v19, v66, v19                                // 000000007634: 02262742
	;; [unrolled: 1-line block ×3, first 2 shown]
	v_add_f32_e32 v19, v68, v19                                // 00000000763C: 02262744
	v_add_f32_e32 v19, v69, v19                                // 000000007640: 02262745
	v_add_f32_e32 v19, v70, v19                                // 000000007644: 02262746
	;; [unrolled: 1-line block ×3, first 2 shown]
	v_add_f32_e32 v19, v72, v19                                // 00000000764C: 02262748
	v_add_f32_e32 v19, v73, v19                                // 000000007650: 02262749
	v_add_f32_e32 v19, v74, v19                                // 000000007654: 0226274A
	v_add_f32_e32 v19, v75, v19                                // 000000007658: 0226274B
	v_add_f32_e32 v19, v76, v19                                // 00000000765C: 0226274C
	v_add_f32_e32 v19, v77, v19                                // 000000007660: 0226274D
	v_add_f32_e32 v19, v78, v19                                // 000000007664: 0226274E
	v_add_f32_e32 v19, v79, v19                                // 000000007668: 0226274F
	v_add_f32_e32 v19, v80, v19                                // 00000000766C: 02262750
	v_add_f32_e32 v19, v81, v19                                // 000000007670: 02262751
	v_add_f32_e32 v19, v82, v19                                // 000000007674: 02262752
	;; [unrolled: 1-line block ×3, first 2 shown]
	v_add_f32_e32 v19, v84, v19                                // 00000000767C: 02262754
	v_add_f32_e32 v19, v85, v19                                // 000000007680: 02262755
	v_add_f32_e32 v19, v86, v19                                // 000000007684: 02262756
	;; [unrolled: 1-line block ×3, first 2 shown]
	v_add_f32_e32 v19, v88, v19                                // 00000000768C: 02262758
	v_add_f32_e32 v19, v89, v19                                // 000000007690: 02262759
	v_add_f32_e32 v19, v90, v19                                // 000000007694: 0226275A
	v_add_f32_e32 v19, v91, v19                                // 000000007698: 0226275B
	v_add_f32_e32 v19, v92, v19                                // 00000000769C: 0226275C
	v_add_f32_e32 v19, v93, v19                                // 0000000076A0: 0226275D
	v_add_f32_e32 v19, v94, v19                                // 0000000076A4: 0226275E
	v_add_f32_e32 v19, v95, v19                                // 0000000076A8: 0226275F
	v_mov_b32_e32 v20, v19                                     // 0000000076AC: 7E280313
	v_mul_f32_e32 v96, v16, v96                                // 0000000076B0: 0AC0C110
	v_mul_f32_e32 v97, v16, v97                                // 0000000076B4: 0AC2C310
	v_permlane32_swap_b32_e32 v20, v19                         // 0000000076B8: 7E28B513
	v_add_f32_e32 v20, v20, v19                                // 0000000076BC: 02282714
	v_add_f32_e32 v18, v20, v18                                // 0000000076C0: 02242514
	v_mul_f32_e32 v98, v16, v98                                // 0000000076C4: 0AC4C510
	v_mul_f32_e32 v99, v16, v99                                // 0000000076C8: 0AC6C710
	v_mul_f32_e32 v100, v16, v100                              // 0000000076CC: 0AC8C910
	v_mul_f32_e32 v101, v16, v101                              // 0000000076D0: 0ACACB10
	v_mul_f32_e32 v102, v16, v102                              // 0000000076D4: 0ACCCD10
	v_mul_f32_e32 v103, v16, v103                              // 0000000076D8: 0ACECF10
	v_mul_f32_e32 v104, v16, v104                              // 0000000076DC: 0AD0D110
	v_mul_f32_e32 v105, v16, v105                              // 0000000076E0: 0AD2D310
	v_mul_f32_e32 v106, v16, v106                              // 0000000076E4: 0AD4D510
	v_mul_f32_e32 v107, v16, v107                              // 0000000076E8: 0AD6D710
	v_mul_f32_e32 v108, v16, v108                              // 0000000076EC: 0AD8D910
	v_mul_f32_e32 v109, v16, v109                              // 0000000076F0: 0ADADB10
	v_cvt_pk_bf16_f32 v64, v64, v65                            // 0000000076F4: D2680040 00028340
	v_cvt_pk_bf16_f32 v65, v66, v67                            // 0000000076FC: D2680041 00028742
	v_cvt_pk_bf16_f32 v66, v68, v69                            // 000000007704: D2680042 00028B44
	v_cvt_pk_bf16_f32 v67, v70, v71                            // 00000000770C: D2680043 00028F46
	v_cvt_pk_bf16_f32 v68, v72, v73                            // 000000007714: D2680044 00029348
	v_cvt_pk_bf16_f32 v69, v74, v75                            // 00000000771C: D2680045 0002974A
	v_cvt_pk_bf16_f32 v70, v76, v77                            // 000000007724: D2680046 00029B4C
	v_cvt_pk_bf16_f32 v71, v78, v79                            // 00000000772C: D2680047 00029F4E
	v_cvt_pk_bf16_f32 v72, v80, v81                            // 000000007734: D2680048 0002A350
	v_cvt_pk_bf16_f32 v73, v82, v83                            // 00000000773C: D2680049 0002A752
	v_cvt_pk_bf16_f32 v74, v84, v85                            // 000000007744: D268004A 0002AB54
	v_cvt_pk_bf16_f32 v75, v86, v87                            // 00000000774C: D268004B 0002AF56
	v_cvt_pk_bf16_f32 v76, v88, v89                            // 000000007754: D268004C 0002B358
	v_cvt_pk_bf16_f32 v77, v90, v91                            // 00000000775C: D268004D 0002B75A
	v_cvt_pk_bf16_f32 v78, v92, v93                            // 000000007764: D268004E 0002BB5C
	v_cvt_pk_bf16_f32 v79, v94, v95                            // 00000000776C: D268004F 0002BF5E
	s_waitcnt lgkmcnt(0)                                       // 000000007774: BF8CC07F
	v_mfma_f32_32x32x16_bf16 v[96:111], v[192:195], v[64:67], v[96:111]// 000000007778: D3B70060 058281C0
	v_mfma_f32_32x32x16_bf16 v[96:111], v[196:199], v[68:71], v[96:111]// 000000007780: D3B70060 058289C4
	v_mfma_f32_32x32x16_bf16 v[96:111], v[200:203], v[72:75], v[96:111]// 000000007788: D3B70060 058291C8
	v_mfma_f32_32x32x16_bf16 v[96:111], v[204:207], v[76:79], v[96:111]// 000000007790: D3B70060 058299CC
	v_mfma_f32_32x32x16_bf16 v[112:127], v[208:211], v[64:67], v[112:127]// 000000007798: D3B70070 05C281D0
	v_mfma_f32_32x32x16_bf16 v[112:127], v[212:215], v[68:71], v[112:127]// 0000000077A0: D3B70070 05C289D4
	v_mfma_f32_32x32x16_bf16 v[112:127], v[216:219], v[72:75], v[112:127]// 0000000077A8: D3B70070 05C291D8
	v_mfma_f32_32x32x16_bf16 v[112:127], v[220:223], v[76:79], v[112:127]// 0000000077B0: D3B70070 05C299DC
	v_mfma_f32_32x32x16_bf16 v[128:143], v[224:227], v[64:67], v[128:143]// 0000000077B8: D3B70080 060281E0
	v_mfma_f32_32x32x16_bf16 v[128:143], v[228:231], v[68:71], v[128:143]// 0000000077C0: D3B70080 060289E4
	v_mfma_f32_32x32x16_bf16 v[128:143], v[232:235], v[72:75], v[128:143]// 0000000077C8: D3B70080 060291E8
	v_mfma_f32_32x32x16_bf16 v[128:143], v[236:239], v[76:79], v[128:143]// 0000000077D0: D3B70080 060299EC
	v_mfma_f32_32x32x16_bf16 v[144:159], v[240:243], v[64:67], v[144:159]// 0000000077D8: D3B70090 064281F0
	v_mfma_f32_32x32x16_bf16 v[144:159], v[244:247], v[68:71], v[144:159]// 0000000077E0: D3B70090 064289F4
	v_mfma_f32_32x32x16_bf16 v[144:159], v[248:251], v[72:75], v[144:159]// 0000000077E8: D3B70090 064291F8
	v_mfma_f32_32x32x16_bf16 v[144:159], v[252:255], v[76:79], v[144:159]// 0000000077F0: D3B70090 064299FC
	s_branch label_1202                                        // 0000000077F8: BF8200C3

00000000000077fc <label_113F>:
	s_waitcnt vmcnt(2)                                         // 0000000077FC: BF8C0F72
	s_barrier                                                  // 000000007800: BF8A0000
	ds_read_b64_tr_b16 v[192:193], v10                         // 000000007804: D9C60000 C000000A
	ds_read_b64_tr_b16 v[194:195], v10 offset:512              // 00000000780C: D9C60200 C200000A
	ds_read_b64_tr_b16 v[208:209], v10 offset:64               // 000000007814: D9C60040 D000000A
	ds_read_b64_tr_b16 v[210:211], v10 offset:576              // 00000000781C: D9C60240 D200000A
	ds_read_b64_tr_b16 v[196:197], v10 offset:2176             // 000000007824: D9C60880 C400000A
	ds_read_b64_tr_b16 v[198:199], v10 offset:2688             // 00000000782C: D9C60A80 C600000A
	ds_read_b64_tr_b16 v[212:213], v10 offset:2240             // 000000007834: D9C608C0 D400000A
	ds_read_b64_tr_b16 v[214:215], v10 offset:2752             // 00000000783C: D9C60AC0 D600000A
	ds_read_b64_tr_b16 v[200:201], v10 offset:4352             // 000000007844: D9C61100 C800000A
	ds_read_b64_tr_b16 v[202:203], v10 offset:4864             // 00000000784C: D9C61300 CA00000A
	ds_read_b64_tr_b16 v[216:217], v10 offset:4416             // 000000007854: D9C61140 D800000A
	ds_read_b64_tr_b16 v[218:219], v10 offset:4928             // 00000000785C: D9C61340 DA00000A
	ds_read_b64_tr_b16 v[204:205], v10 offset:6528             // 000000007864: D9C61980 CC00000A
	ds_read_b64_tr_b16 v[206:207], v10 offset:7040             // 00000000786C: D9C61B80 CE00000A
	ds_read_b64_tr_b16 v[220:221], v10 offset:6592             // 000000007874: D9C619C0 DC00000A
	ds_read_b64_tr_b16 v[222:223], v10 offset:7104             // 00000000787C: D9C61BC0 DE00000A
	ds_read_b64_tr_b16 v[224:225], v10 offset:8704             // 000000007884: D9C62200 E000000A
	ds_read_b64_tr_b16 v[226:227], v10 offset:9216             // 00000000788C: D9C62400 E200000A
	ds_read_b64_tr_b16 v[240:241], v10 offset:8768             // 000000007894: D9C62240 F000000A
	ds_read_b64_tr_b16 v[242:243], v10 offset:9280             // 00000000789C: D9C62440 F200000A
	ds_read_b64_tr_b16 v[228:229], v10 offset:10880            // 0000000078A4: D9C62A80 E400000A
	ds_read_b64_tr_b16 v[230:231], v10 offset:11392            // 0000000078AC: D9C62C80 E600000A
	ds_read_b64_tr_b16 v[244:245], v10 offset:10944            // 0000000078B4: D9C62AC0 F400000A
	ds_read_b64_tr_b16 v[246:247], v10 offset:11456            // 0000000078BC: D9C62CC0 F600000A
	ds_read_b64_tr_b16 v[232:233], v10 offset:13056            // 0000000078C4: D9C63300 E800000A
	ds_read_b64_tr_b16 v[234:235], v10 offset:13568            // 0000000078CC: D9C63500 EA00000A
	ds_read_b64_tr_b16 v[248:249], v10 offset:13120            // 0000000078D4: D9C63340 F800000A
	ds_read_b64_tr_b16 v[250:251], v10 offset:13632            // 0000000078DC: D9C63540 FA00000A
	ds_read_b64_tr_b16 v[236:237], v10 offset:15232            // 0000000078E4: D9C63B80 EC00000A
	ds_read_b64_tr_b16 v[238:239], v10 offset:15744            // 0000000078EC: D9C63D80 EE00000A
	ds_read_b64_tr_b16 v[252:253], v10 offset:15296            // 0000000078F4: D9C63BC0 FC00000A
	ds_read_b64_tr_b16 v[254:255], v10 offset:15808            // 0000000078FC: D9C63DC0 FE00000A
	v_exp_f32_e32 v50, v50                                     // 000000007904: 7E644132
	v_exp_f32_e32 v51, v51                                     // 000000007908: 7E664133
	v_exp_f32_e32 v52, v52                                     // 00000000790C: 7E684134
	v_exp_f32_e32 v53, v53                                     // 000000007910: 7E6A4135
	v_exp_f32_e32 v54, v54                                     // 000000007914: 7E6C4136
	v_exp_f32_e32 v55, v55                                     // 000000007918: 7E6E4137
	v_exp_f32_e32 v56, v56                                     // 00000000791C: 7E704138
	v_exp_f32_e32 v57, v57                                     // 000000007920: 7E724139
	v_exp_f32_e32 v58, v58                                     // 000000007924: 7E74413A
	v_exp_f32_e32 v59, v59                                     // 000000007928: 7E76413B
	v_exp_f32_e32 v60, v60                                     // 00000000792C: 7E78413C
	v_exp_f32_e32 v61, v61                                     // 000000007930: 7E7A413D
	v_exp_f32_e32 v62, v62                                     // 000000007934: 7E7C413E
	v_exp_f32_e32 v63, v63                                     // 000000007938: 7E7E413F
	v_mul_f32_e32 v18, v16, v18                                // 00000000793C: 0A242510
	v_add_f32_e32 v19, v33, v32                                // 000000007940: 02264121
	v_add_f32_e32 v19, v34, v19                                // 000000007944: 02262722
	;; [unrolled: 1-line block ×3, first 2 shown]
	v_add_f32_e32 v19, v36, v19                                // 00000000794C: 02262724
	v_add_f32_e32 v19, v37, v19                                // 000000007950: 02262725
	v_add_f32_e32 v19, v38, v19                                // 000000007954: 02262726
	;; [unrolled: 1-line block ×3, first 2 shown]
	v_add_f32_e32 v19, v40, v19                                // 00000000795C: 02262728
	v_add_f32_e32 v19, v41, v19                                // 000000007960: 02262729
	v_add_f32_e32 v19, v42, v19                                // 000000007964: 0226272A
	v_add_f32_e32 v19, v43, v19                                // 000000007968: 0226272B
	v_add_f32_e32 v19, v44, v19                                // 00000000796C: 0226272C
	v_add_f32_e32 v19, v45, v19                                // 000000007970: 0226272D
	v_add_f32_e32 v19, v46, v19                                // 000000007974: 0226272E
	v_add_f32_e32 v19, v47, v19                                // 000000007978: 0226272F
	v_add_f32_e32 v19, v48, v19                                // 00000000797C: 02262730
	v_add_f32_e32 v19, v49, v19                                // 000000007980: 02262731
	v_add_f32_e32 v19, v50, v19                                // 000000007984: 02262732
	;; [unrolled: 1-line block ×3, first 2 shown]
	v_add_f32_e32 v19, v52, v19                                // 00000000798C: 02262734
	v_add_f32_e32 v19, v53, v19                                // 000000007990: 02262735
	v_add_f32_e32 v19, v54, v19                                // 000000007994: 02262736
	;; [unrolled: 1-line block ×3, first 2 shown]
	v_add_f32_e32 v19, v56, v19                                // 00000000799C: 02262738
	v_add_f32_e32 v19, v57, v19                                // 0000000079A0: 02262739
	v_add_f32_e32 v19, v58, v19                                // 0000000079A4: 0226273A
	v_add_f32_e32 v19, v59, v19                                // 0000000079A8: 0226273B
	v_add_f32_e32 v19, v60, v19                                // 0000000079AC: 0226273C
	v_add_f32_e32 v19, v61, v19                                // 0000000079B0: 0226273D
	v_add_f32_e32 v19, v62, v19                                // 0000000079B4: 0226273E
	v_add_f32_e32 v19, v63, v19                                // 0000000079B8: 0226273F
	v_mov_b32_e32 v20, v19                                     // 0000000079BC: 7E280313
	v_mul_f32_e32 v96, v16, v96                                // 0000000079C0: 0AC0C110
	v_mul_f32_e32 v97, v16, v97                                // 0000000079C4: 0AC2C310
	v_permlane32_swap_b32_e32 v20, v19                         // 0000000079C8: 7E28B513
	v_add_f32_e32 v20, v20, v19                                // 0000000079CC: 02282714
	v_add_f32_e32 v18, v20, v18                                // 0000000079D0: 02242514
	v_mul_f32_e32 v98, v16, v98                                // 0000000079D4: 0AC4C510
	v_mul_f32_e32 v99, v16, v99                                // 0000000079D8: 0AC6C710
	v_mul_f32_e32 v100, v16, v100                              // 0000000079DC: 0AC8C910
	v_mul_f32_e32 v101, v16, v101                              // 0000000079E0: 0ACACB10
	v_mul_f32_e32 v102, v16, v102                              // 0000000079E4: 0ACCCD10
	v_mul_f32_e32 v103, v16, v103                              // 0000000079E8: 0ACECF10
	v_mul_f32_e32 v104, v16, v104                              // 0000000079EC: 0AD0D110
	v_mul_f32_e32 v105, v16, v105                              // 0000000079F0: 0AD2D310
	v_mul_f32_e32 v106, v16, v106                              // 0000000079F4: 0AD4D510
	v_mul_f32_e32 v107, v16, v107                              // 0000000079F8: 0AD6D710
	v_mul_f32_e32 v108, v16, v108                              // 0000000079FC: 0AD8D910
	v_mul_f32_e32 v109, v16, v109                              // 000000007A00: 0ADADB10
	v_cvt_pk_bf16_f32 v32, v32, v33                            // 000000007A04: D2680020 00024320
	v_cvt_pk_bf16_f32 v33, v34, v35                            // 000000007A0C: D2680021 00024722
	v_cvt_pk_bf16_f32 v34, v36, v37                            // 000000007A14: D2680022 00024B24
	v_cvt_pk_bf16_f32 v35, v38, v39                            // 000000007A1C: D2680023 00024F26
	v_cvt_pk_bf16_f32 v36, v40, v41                            // 000000007A24: D2680024 00025328
	v_cvt_pk_bf16_f32 v37, v42, v43                            // 000000007A2C: D2680025 0002572A
	v_cvt_pk_bf16_f32 v38, v44, v45                            // 000000007A34: D2680026 00025B2C
	v_cvt_pk_bf16_f32 v39, v46, v47                            // 000000007A3C: D2680027 00025F2E
	v_cvt_pk_bf16_f32 v40, v48, v49                            // 000000007A44: D2680028 00026330
	v_cvt_pk_bf16_f32 v41, v50, v51                            // 000000007A4C: D2680029 00026732
	v_cvt_pk_bf16_f32 v42, v52, v53                            // 000000007A54: D268002A 00026B34
	v_cvt_pk_bf16_f32 v43, v54, v55                            // 000000007A5C: D268002B 00026F36
	v_cvt_pk_bf16_f32 v44, v56, v57                            // 000000007A64: D268002C 00027338
	v_cvt_pk_bf16_f32 v45, v58, v59                            // 000000007A6C: D268002D 0002773A
	v_cvt_pk_bf16_f32 v46, v60, v61                            // 000000007A74: D268002E 00027B3C
	v_cvt_pk_bf16_f32 v47, v62, v63                            // 000000007A7C: D268002F 00027F3E
	s_waitcnt lgkmcnt(0)                                       // 000000007A84: BF8CC07F
	v_mfma_f32_32x32x16_bf16 v[96:111], v[192:195], v[32:35], v[96:111]// 000000007A88: D3B70060 058241C0
	v_mfma_f32_32x32x16_bf16 v[96:111], v[196:199], v[36:39], v[96:111]// 000000007A90: D3B70060 058249C4
	v_mfma_f32_32x32x16_bf16 v[96:111], v[200:203], v[40:43], v[96:111]// 000000007A98: D3B70060 058251C8
	v_mfma_f32_32x32x16_bf16 v[96:111], v[204:207], v[44:47], v[96:111]// 000000007AA0: D3B70060 058259CC
	v_mfma_f32_32x32x16_bf16 v[112:127], v[208:211], v[32:35], v[112:127]// 000000007AA8: D3B70070 05C241D0
	v_mfma_f32_32x32x16_bf16 v[112:127], v[212:215], v[36:39], v[112:127]// 000000007AB0: D3B70070 05C249D4
	v_mfma_f32_32x32x16_bf16 v[112:127], v[216:219], v[40:43], v[112:127]// 000000007AB8: D3B70070 05C251D8
	v_mfma_f32_32x32x16_bf16 v[112:127], v[220:223], v[44:47], v[112:127]// 000000007AC0: D3B70070 05C259DC
	v_mfma_f32_32x32x16_bf16 v[128:143], v[224:227], v[32:35], v[128:143]// 000000007AC8: D3B70080 060241E0
	v_mfma_f32_32x32x16_bf16 v[128:143], v[228:231], v[36:39], v[128:143]// 000000007AD0: D3B70080 060249E4
	v_mfma_f32_32x32x16_bf16 v[128:143], v[232:235], v[40:43], v[128:143]// 000000007AD8: D3B70080 060251E8
	v_mfma_f32_32x32x16_bf16 v[128:143], v[236:239], v[44:47], v[128:143]// 000000007AE0: D3B70080 060259EC
	v_mfma_f32_32x32x16_bf16 v[144:159], v[240:243], v[32:35], v[144:159]// 000000007AE8: D3B70090 064241F0
	v_mfma_f32_32x32x16_bf16 v[144:159], v[244:247], v[36:39], v[144:159]// 000000007AF0: D3B70090 064249F4
	v_mfma_f32_32x32x16_bf16 v[144:159], v[248:251], v[40:43], v[144:159]// 000000007AF8: D3B70090 064251F8
	v_mfma_f32_32x32x16_bf16 v[144:159], v[252:255], v[44:47], v[144:159]// 000000007B00: D3B70090 064259FC

0000000000007b08 <label_1202>:
	v_cvt_f32_u32_e32 v12, s50                                 // 000000007B08: 7E180C32
	s_sub_i32 s40, 0, s50                                      // 000000007B0C: 81A83280
	v_rcp_iflag_f32_e32 v12, v12                               // 000000007B10: 7E18470C
	s_nop 0                                                    // 000000007B14: BF800000
	v_mul_f32_e32 v12, 0x4f7ffffe, v12                         // 000000007B18: 0A1818FF 4F7FFFFE
	v_cvt_u32_f32_e32 v12, v12                                 // 000000007B20: 7E180F0C
	v_mul_lo_u32 v13, s40, v12                                 // 000000007B24: D285000D 00021828
	v_mul_hi_u32 v13, v12, v13                                 // 000000007B2C: D286000D 00021B0C
	v_add_u32_e32 v12, v12, v13                                // 000000007B34: 68181B0C
	v_mul_hi_u32 v12, s59, v12                                 // 000000007B38: D286000C 0002183B
	v_mul_lo_u32 v13, v12, s50                                 // 000000007B40: D285000D 0000650C
	v_sub_u32_e32 v15, s59, v13                                // 000000007B48: 6A1E1A3B
	v_add_u32_e32 v14, 1, v12                                  // 000000007B4C: 681C1881
	v_cmp_le_u32_e32 vcc, s50, v15                             // 000000007B50: 7D961E32
	v_subrev_u32_e32 v13, s50, v15                             // 000000007B54: 6C1A1E32
	s_nop 0                                                    // 000000007B58: BF800000
	v_cndmask_b32_e32 v12, v12, v14, vcc                       // 000000007B5C: 00181D0C
	v_cndmask_b32_e32 v15, v15, v13, vcc                       // 000000007B60: 001E1B0F
	v_add_u32_e32 v13, 1, v12                                  // 000000007B64: 681A1881
	v_cmp_le_u32_e32 vcc, s50, v15                             // 000000007B68: 7D961E32
	s_nop 1                                                    // 000000007B6C: BF800001
	v_cndmask_b32_e32 v15, v12, v13, vcc                       // 000000007B70: 001E1B0C
	s_nop 3                                                    // 000000007B74: BF800003
	v_readfirstlane_b32 s59, v15                               // 000000007B78: 7E76050F
	s_nop 3                                                    // 000000007B7C: BF800003
	s_mul_i32 s59, s59, s79                                    // 000000007B80: 923B4F3B
	v_lshrrev_b32_e32 v12, 4, v0                               // 000000007B84: 20180084
	v_and_b32_e32 v13, 1, v12                                  // 000000007B88: 261A1881
	v_mul_i32_i24_e32 v13, 32, v13                             // 000000007B8C: 0C1A1AA0
	v_lshrrev_b32_e32 v14, 1, v12                              // 000000007B90: 201C1881
	v_mul_i32_i24_e32 v14, 16, v14                             // 000000007B94: 0C1C1C90
	v_add_u32_e32 v13, v14, v13                                // 000000007B98: 681A1B0E
	v_and_b32_e32 v12, 15, v0                                  // 000000007B9C: 2618008F
	v_mul_i32_i24_e32 v12, s79, v12                            // 000000007BA0: 0C18184F
	v_add_u32_e32 v12, v13, v12                                // 000000007BA4: 6818190D
	s_mul_i32 s40, s5, s79                                     // 000000007BA8: 92284F05
	s_mul_i32 s40, s40, 32                                     // 000000007BAC: 9228A028
	s_add_u32 s40, s59, s40                                    // 000000007BB0: 8028283B
	v_add_u32_e32 v22, s40, v12                                // 000000007BB4: 682C1828
	s_mul_i32 s40, s4, 0x100                                   // 000000007BB8: 9228FF04 00000100
	v_and_b32_e32 v3, 31, v0                                   // 000000007BC0: 2606009F
	v_add_u32_e32 v3, s40, v3                                  // 000000007BC4: 68060628
	s_mul_i32 s40, s5, 32                                      // 000000007BC8: 9228A005
	v_add_u32_e32 v3, s40, v3                                  // 000000007BCC: 68060628
	v_lshlrev_b32_e32 v3, 2, v3                                // 000000007BD0: 24060682
	v_mul_f32_e64 v12, v24, s28                                // 000000007BD4: D105000C 00003918
	v_log_f32_e32 v13, v18                                     // 000000007BDC: 7E1A4312
	v_cmp_eq_f32_e64 s[40:41], v18, 0                          // 000000007BE0: D0420028 00010112
	s_nop 1                                                    // 000000007BE8: BF800001
	v_rcp_f32_e32 v18, v18                                     // 000000007BEC: 7E244512
	s_nop 1                                                    // 000000007BF0: BF800001
	v_cndmask_b32_e64 v18, v18, 0, s[40:41]                    // 000000007BF4: D1000012 00A10112
	v_fma_f32 v2, v13, s45, v12                                // 000000007BFC: D1CB0002 04305B0D
	s_mul_i32 s40, s79, 16                                     // 000000007C04: 9228904F
	v_add_u32_e32 v23, s40, v22                                // 000000007C08: 682E2C28
	v_mov_b32_e32 v19, v18                                     // 000000007C0C: 7E260312
	v_pk_mul_f32 v[96:97], v[18:19], v[96:97]                  // 000000007C10: D3B14060 1802C112
	v_pk_mul_f32 v[98:99], v[18:19], v[98:99]                  // 000000007C18: D3B14062 1802C512
	v_pk_mul_f32 v[100:101], v[18:19], v[100:101]              // 000000007C20: D3B14064 1802C912
	v_pk_mul_f32 v[102:103], v[18:19], v[102:103]              // 000000007C28: D3B14066 1802CD12
	v_pk_mul_f32 v[104:105], v[18:19], v[104:105]              // 000000007C30: D3B14068 1802D112
	v_pk_mul_f32 v[106:107], v[18:19], v[106:107]              // 000000007C38: D3B1406A 1802D512
	v_pk_mul_f32 v[108:109], v[18:19], v[108:109]              // 000000007C40: D3B1406C 1802D912
	v_pk_mul_f32 v[110:111], v[18:19], v[110:111]              // 000000007C48: D3B1406E 1802DD12
	v_cvt_pk_bf16_f32 v96, v96, v97                            // 000000007C50: D2680060 0002C360
	v_cvt_pk_bf16_f32 v97, v98, v99                            // 000000007C58: D2680061 0002C762
	v_cvt_pk_bf16_f32 v98, v100, v101                          // 000000007C60: D2680062 0002CB64
	v_cvt_pk_bf16_f32 v99, v102, v103                          // 000000007C68: D2680063 0002CF66
	v_nop                                                      // 000000007C70: 7E000000
	v_permlane32_swap_b32_e32 v96, v98                         // 000000007C74: 7EC0B562
	v_permlane32_swap_b32_e32 v97, v99                         // 000000007C78: 7EC2B563
	v_cvt_pk_bf16_f32 v104, v104, v105                         // 000000007C7C: D2680068 0002D368
	v_cvt_pk_bf16_f32 v105, v106, v107                         // 000000007C84: D2680069 0002D76A
	v_cvt_pk_bf16_f32 v106, v108, v109                         // 000000007C8C: D268006A 0002DB6C
	v_cvt_pk_bf16_f32 v107, v110, v111                         // 000000007C94: D268006B 0002DF6E
	v_nop                                                      // 000000007C9C: 7E000000
	v_permlane32_swap_b32_e32 v104, v106                       // 000000007CA0: 7ED0B56A
	v_permlane32_swap_b32_e32 v105, v107                       // 000000007CA4: 7ED2B56B
	v_permlane16_swap_b32_e32 v96, v104                        // 000000007CA8: 7EC0B368
	v_permlane16_swap_b32_e32 v97, v105                        // 000000007CAC: 7EC2B369
	v_permlane16_swap_b32_e32 v98, v106                        // 000000007CB0: 7EC4B36A
	v_permlane16_swap_b32_e32 v99, v107                        // 000000007CB4: 7EC6B36B
	buffer_store_dwordx4 v[96:99], v22, s[20:23], 0 offen      // 000000007CB8: E07C1000 80056016
	buffer_store_dwordx4 v[104:107], v23, s[20:23], 0 offen    // 000000007CC0: E07C1000 80056817
	v_pk_mul_f32 v[112:113], v[18:19], v[112:113]              // 000000007CC8: D3B14070 1802E112
	v_pk_mul_f32 v[114:115], v[18:19], v[114:115]              // 000000007CD0: D3B14072 1802E512
	v_pk_mul_f32 v[116:117], v[18:19], v[116:117]              // 000000007CD8: D3B14074 1802E912
	v_pk_mul_f32 v[118:119], v[18:19], v[118:119]              // 000000007CE0: D3B14076 1802ED12
	v_pk_mul_f32 v[120:121], v[18:19], v[120:121]              // 000000007CE8: D3B14078 1802F112
	v_pk_mul_f32 v[122:123], v[18:19], v[122:123]              // 000000007CF0: D3B1407A 1802F512
	v_pk_mul_f32 v[124:125], v[18:19], v[124:125]              // 000000007CF8: D3B1407C 1802F912
	v_pk_mul_f32 v[126:127], v[18:19], v[126:127]              // 000000007D00: D3B1407E 1802FD12
	v_cvt_pk_bf16_f32 v112, v112, v113                         // 000000007D08: D2680070 0002E370
	v_cvt_pk_bf16_f32 v113, v114, v115                         // 000000007D10: D2680071 0002E772
	v_cvt_pk_bf16_f32 v114, v116, v117                         // 000000007D18: D2680072 0002EB74
	v_cvt_pk_bf16_f32 v115, v118, v119                         // 000000007D20: D2680073 0002EF76
	v_nop                                                      // 000000007D28: 7E000000
	v_permlane32_swap_b32_e32 v112, v114                       // 000000007D2C: 7EE0B572
	v_permlane32_swap_b32_e32 v113, v115                       // 000000007D30: 7EE2B573
	v_cvt_pk_bf16_f32 v120, v120, v121                         // 000000007D34: D2680078 0002F378
	v_cvt_pk_bf16_f32 v121, v122, v123                         // 000000007D3C: D2680079 0002F77A
	v_cvt_pk_bf16_f32 v122, v124, v125                         // 000000007D44: D268007A 0002FB7C
	v_cvt_pk_bf16_f32 v123, v126, v127                         // 000000007D4C: D268007B 0002FF7E
	v_nop                                                      // 000000007D54: 7E000000
	v_permlane32_swap_b32_e32 v120, v122                       // 000000007D58: 7EF0B57A
	v_permlane32_swap_b32_e32 v121, v123                       // 000000007D5C: 7EF2B57B
	v_permlane16_swap_b32_e32 v112, v120                       // 000000007D60: 7EE0B378
	v_permlane16_swap_b32_e32 v113, v121                       // 000000007D64: 7EE2B379
	v_permlane16_swap_b32_e32 v114, v122                       // 000000007D68: 7EE4B37A
	v_permlane16_swap_b32_e32 v115, v123                       // 000000007D6C: 7EE6B37B
	buffer_store_dwordx4 v[112:115], v22, s[20:23], 0 offen offset:64// 000000007D70: E07C1040 80057016
	buffer_store_dwordx4 v[120:123], v23, s[20:23], 0 offen offset:64// 000000007D78: E07C1040 80057817
	v_pk_mul_f32 v[128:129], v[18:19], v[128:129]              // 000000007D80: D3B14080 18030112
	v_pk_mul_f32 v[130:131], v[18:19], v[130:131]              // 000000007D88: D3B14082 18030512
	v_pk_mul_f32 v[132:133], v[18:19], v[132:133]              // 000000007D90: D3B14084 18030912
	v_pk_mul_f32 v[134:135], v[18:19], v[134:135]              // 000000007D98: D3B14086 18030D12
	v_pk_mul_f32 v[136:137], v[18:19], v[136:137]              // 000000007DA0: D3B14088 18031112
	v_pk_mul_f32 v[138:139], v[18:19], v[138:139]              // 000000007DA8: D3B1408A 18031512
	v_pk_mul_f32 v[140:141], v[18:19], v[140:141]              // 000000007DB0: D3B1408C 18031912
	v_pk_mul_f32 v[142:143], v[18:19], v[142:143]              // 000000007DB8: D3B1408E 18031D12
	v_cvt_pk_bf16_f32 v128, v128, v129                         // 000000007DC0: D2680080 00030380
	v_cvt_pk_bf16_f32 v129, v130, v131                         // 000000007DC8: D2680081 00030782
	v_cvt_pk_bf16_f32 v130, v132, v133                         // 000000007DD0: D2680082 00030B84
	v_cvt_pk_bf16_f32 v131, v134, v135                         // 000000007DD8: D2680083 00030F86
	v_nop                                                      // 000000007DE0: 7E000000
	v_permlane32_swap_b32_e32 v128, v130                       // 000000007DE4: 7F00B582
	v_permlane32_swap_b32_e32 v129, v131                       // 000000007DE8: 7F02B583
	v_cvt_pk_bf16_f32 v136, v136, v137                         // 000000007DEC: D2680088 00031388
	v_cvt_pk_bf16_f32 v137, v138, v139                         // 000000007DF4: D2680089 0003178A
	v_cvt_pk_bf16_f32 v138, v140, v141                         // 000000007DFC: D268008A 00031B8C
	v_cvt_pk_bf16_f32 v139, v142, v143                         // 000000007E04: D268008B 00031F8E
	v_nop                                                      // 000000007E0C: 7E000000
	v_permlane32_swap_b32_e32 v136, v138                       // 000000007E10: 7F10B58A
	v_permlane32_swap_b32_e32 v137, v139                       // 000000007E14: 7F12B58B
	v_permlane16_swap_b32_e32 v128, v136                       // 000000007E18: 7F00B388
	v_permlane16_swap_b32_e32 v129, v137                       // 000000007E1C: 7F02B389
	v_permlane16_swap_b32_e32 v130, v138                       // 000000007E20: 7F04B38A
	v_permlane16_swap_b32_e32 v131, v139                       // 000000007E24: 7F06B38B
	buffer_store_dwordx4 v[128:131], v22, s[20:23], 0 offen offset:128// 000000007E28: E07C1080 80058016
	buffer_store_dwordx4 v[136:139], v23, s[20:23], 0 offen offset:128// 000000007E30: E07C1080 80058817
	v_pk_mul_f32 v[144:145], v[18:19], v[144:145]              // 000000007E38: D3B14090 18032112
	v_pk_mul_f32 v[146:147], v[18:19], v[146:147]              // 000000007E40: D3B14092 18032512
	v_pk_mul_f32 v[148:149], v[18:19], v[148:149]              // 000000007E48: D3B14094 18032912
	v_pk_mul_f32 v[150:151], v[18:19], v[150:151]              // 000000007E50: D3B14096 18032D12
	v_pk_mul_f32 v[152:153], v[18:19], v[152:153]              // 000000007E58: D3B14098 18033112
	v_pk_mul_f32 v[154:155], v[18:19], v[154:155]              // 000000007E60: D3B1409A 18033512
	v_pk_mul_f32 v[156:157], v[18:19], v[156:157]              // 000000007E68: D3B1409C 18033912
	v_pk_mul_f32 v[158:159], v[18:19], v[158:159]              // 000000007E70: D3B1409E 18033D12
	v_cvt_pk_bf16_f32 v144, v144, v145                         // 000000007E78: D2680090 00032390
	v_cvt_pk_bf16_f32 v145, v146, v147                         // 000000007E80: D2680091 00032792
	v_cvt_pk_bf16_f32 v146, v148, v149                         // 000000007E88: D2680092 00032B94
	v_cvt_pk_bf16_f32 v147, v150, v151                         // 000000007E90: D2680093 00032F96
	v_nop                                                      // 000000007E98: 7E000000
	v_permlane32_swap_b32_e32 v144, v146                       // 000000007E9C: 7F20B592
	v_permlane32_swap_b32_e32 v145, v147                       // 000000007EA0: 7F22B593
	v_cvt_pk_bf16_f32 v152, v152, v153                         // 000000007EA4: D2680098 00033398
	v_cvt_pk_bf16_f32 v153, v154, v155                         // 000000007EAC: D2680099 0003379A
	v_cvt_pk_bf16_f32 v154, v156, v157                         // 000000007EB4: D268009A 00033B9C
	v_cvt_pk_bf16_f32 v155, v158, v159                         // 000000007EBC: D268009B 00033F9E
	v_nop                                                      // 000000007EC4: 7E000000
	v_permlane32_swap_b32_e32 v152, v154                       // 000000007EC8: 7F30B59A
	v_permlane32_swap_b32_e32 v153, v155                       // 000000007ECC: 7F32B59B
	v_permlane16_swap_b32_e32 v144, v152                       // 000000007ED0: 7F20B398
	v_permlane16_swap_b32_e32 v145, v153                       // 000000007ED4: 7F22B399
	v_permlane16_swap_b32_e32 v146, v154                       // 000000007ED8: 7F24B39A
	v_permlane16_swap_b32_e32 v147, v155                       // 000000007EDC: 7F26B39B
	buffer_store_dwordx4 v[144:147], v22, s[20:23], 0 offen offset:192// 000000007EE0: E07C10C0 80059016
	buffer_store_dwordx4 v[152:155], v23, s[20:23], 0 offen offset:192// 000000007EE8: E07C10C0 80059817
	s_cmp_eq_u32 s56, 0                                        // 000000007EF0: BF068038
	s_cbranch_scc1 label_1304                                  // 000000007EF4: BF850006
	v_cmp_ge_f32_e64 s[40:41], v2, v27                         // 000000007EF8: D0460028 00023702
	v_cndmask_b32_e64 v2, v27, v2, s[40:41]                    // 000000007F00: D1000002 00A2051B
	buffer_store_dword v2, v3, s[24:27], 0 offen               // 000000007F08: E0701000 80060203

0000000000007f10 <label_1304>:
	s_waitcnt vmcnt(0) expcnt(0) lgkmcnt(0)                    // 000000007F10: BF8C0000
	s_addk_i32 s36, 0x1                                        // 000000007F14: B7240001
	s_add_u32 s40, s30, 0xff                                   // 000000007F18: 8028FF1E 000000FF
	s_lshr_b32 s40, s40, 8                                     // 000000007F20: 8F288828
	s_cmp_lt_u32 s40, 2                                        // 000000007F24: BF0A8228
	s_cselect_b32 s36, 2, s36                                  // 000000007F28: 85242482
	s_add_u32 s41, s30, 0xff                                   // 000000007F2C: 8029FF1E 000000FF
	s_lshr_b32 s40, s41, 8                                     // 000000007F34: 8F288829
	s_sub_u32 s40, s40, 1                                      // 000000007F38: 80A88128
	s_sub_u32 s4, s40, s4                                      // 000000007F3C: 80840428
	s_mul_i32 s43, 64, s47                                     // 000000007F40: 922B2FC0
	s_mul_i32 s44, 64, s76                                     // 000000007F44: 922C4CC0
	s_and_b32 s42, 1, s55                                      // 000000007F48: 862A3781
	s_cmp_lt_i32 s42, 1                                        // 000000007F4C: BF04812A
	s_cbranch_scc1 label_1328                                  // 000000007F50: BF850013
	s_lshl_b32 s40, s4, 2                                      // 000000007F54: 8E288204
	s_add_u32 s40, s40, 3                                      // 000000007F58: 80288328
	s_sub_i32 s41, s7, s30                                     // 000000007F5C: 81A91E07
	s_addk_i32 s41, 0x3f                                       // 000000007F60: B729003F
	s_ashr_i32 s41, s41, 6                                     // 000000007F64: 90298629
	s_add_i32 s40, s40, s41                                    // 000000007F68: 81282928
	s_sub_u32 s41, s7, 1                                       // 000000007F6C: 80A98107
	s_lshr_b32 s41, s41, 6                                     // 000000007F70: 8F298629
	s_cmp_lt_i32 s40, s41                                      // 000000007F74: BF042928
	s_cselect_b32 s40, s40, s41                                // 000000007F78: 85282928
	s_cmp_lt_i32 s40, 0                                        // 000000007F7C: BF048028
	s_cselect_b32 s40, 0, s40                                  // 000000007F80: 85282880
	s_mul_i32 s34, s40, s43                                    // 000000007F84: 92222B28
	s_mul_i32 s35, s40, s44                                    // 000000007F88: 92232C28
	s_mul_i32 s52, s40, 64                                     // 000000007F8C: 9234C028
	s_sub_i32 s44, 0, s44                                      // 000000007F90: 81AC2C80
	s_sub_i32 s43, 0, s43                                      // 000000007F94: 81AB2B80
	s_sub_i32 s53, 0, s53                                      // 000000007F98: 81B53580
	s_branch label_132C                                        // 000000007F9C: BF820004

0000000000007fa0 <label_1328>:
	s_mov_b32 s34, 0                                           // 000000007FA0: BEA20080
	s_mov_b32 s35, 0                                           // 000000007FA4: BEA30080
	s_mov_b32 s52, 0                                           // 000000007FA8: BEB40080
	s_mov_b32 s53, 64                                          // 000000007FAC: BEB500C0

0000000000007fb0 <label_132C>:
	s_cmp_lt_i32 s36, 2                                        // 000000007FB0: BF048224
	s_cbranch_scc1 label_0103                                  // 000000007FB4: BF85EDD5

0000000000007fb8 <label_132E>:
	s_waitcnt vmcnt(0) expcnt(0) lgkmcnt(0)                    // 000000007FB8: BF8C0000
	s_endpgm                                                   // 000000007FBC: BF810000
